;; amdgpu-corpus repo=ROCm/rocFFT kind=compiled arch=gfx906 opt=O3
	.text
	.amdgcn_target "amdgcn-amd-amdhsa--gfx906"
	.amdhsa_code_object_version 6
	.protected	fft_rtc_back_len1375_factors_11_5_5_5_wgs_55_tpt_55_halfLds_sp_ip_CI_unitstride_sbrr_dirReg ; -- Begin function fft_rtc_back_len1375_factors_11_5_5_5_wgs_55_tpt_55_halfLds_sp_ip_CI_unitstride_sbrr_dirReg
	.globl	fft_rtc_back_len1375_factors_11_5_5_5_wgs_55_tpt_55_halfLds_sp_ip_CI_unitstride_sbrr_dirReg
	.p2align	8
	.type	fft_rtc_back_len1375_factors_11_5_5_5_wgs_55_tpt_55_halfLds_sp_ip_CI_unitstride_sbrr_dirReg,@function
fft_rtc_back_len1375_factors_11_5_5_5_wgs_55_tpt_55_halfLds_sp_ip_CI_unitstride_sbrr_dirReg: ; @fft_rtc_back_len1375_factors_11_5_5_5_wgs_55_tpt_55_halfLds_sp_ip_CI_unitstride_sbrr_dirReg
; %bb.0:
	s_load_dwordx2 s[2:3], s[4:5], 0x50
	s_load_dwordx4 s[8:11], s[4:5], 0x0
	s_load_dwordx2 s[12:13], s[4:5], 0x18
	v_mul_u32_u24_e32 v1, 0x4a8, v0
	v_add_u32_sdwa v5, s6, v1 dst_sel:DWORD dst_unused:UNUSED_PAD src0_sel:DWORD src1_sel:WORD_1
	v_mov_b32_e32 v3, 0
	s_waitcnt lgkmcnt(0)
	v_cmp_lt_u64_e64 s[0:1], s[10:11], 2
	v_mov_b32_e32 v1, 0
	v_mov_b32_e32 v6, v3
	s_and_b64 vcc, exec, s[0:1]
	v_mov_b32_e32 v2, 0
	s_cbranch_vccnz .LBB0_8
; %bb.1:
	s_load_dwordx2 s[0:1], s[4:5], 0x10
	s_add_u32 s6, s12, 8
	s_addc_u32 s7, s13, 0
	v_mov_b32_e32 v1, 0
	v_mov_b32_e32 v2, 0
	s_waitcnt lgkmcnt(0)
	s_add_u32 s14, s0, 8
	s_addc_u32 s15, s1, 0
	s_mov_b64 s[16:17], 1
.LBB0_2:                                ; =>This Inner Loop Header: Depth=1
	s_load_dwordx2 s[18:19], s[14:15], 0x0
                                        ; implicit-def: $vgpr7_vgpr8
	s_waitcnt lgkmcnt(0)
	v_or_b32_e32 v4, s19, v6
	v_cmp_ne_u64_e32 vcc, 0, v[3:4]
	s_and_saveexec_b64 s[0:1], vcc
	s_xor_b64 s[20:21], exec, s[0:1]
	s_cbranch_execz .LBB0_4
; %bb.3:                                ;   in Loop: Header=BB0_2 Depth=1
	v_cvt_f32_u32_e32 v4, s18
	v_cvt_f32_u32_e32 v7, s19
	s_sub_u32 s0, 0, s18
	s_subb_u32 s1, 0, s19
	v_mac_f32_e32 v4, 0x4f800000, v7
	v_rcp_f32_e32 v4, v4
	v_mul_f32_e32 v4, 0x5f7ffffc, v4
	v_mul_f32_e32 v7, 0x2f800000, v4
	v_trunc_f32_e32 v7, v7
	v_mac_f32_e32 v4, 0xcf800000, v7
	v_cvt_u32_f32_e32 v7, v7
	v_cvt_u32_f32_e32 v4, v4
	v_mul_lo_u32 v8, s0, v7
	v_mul_hi_u32 v9, s0, v4
	v_mul_lo_u32 v11, s1, v4
	v_mul_lo_u32 v10, s0, v4
	v_add_u32_e32 v8, v9, v8
	v_add_u32_e32 v8, v8, v11
	v_mul_hi_u32 v9, v4, v10
	v_mul_lo_u32 v11, v4, v8
	v_mul_hi_u32 v13, v4, v8
	v_mul_hi_u32 v12, v7, v10
	v_mul_lo_u32 v10, v7, v10
	v_mul_hi_u32 v14, v7, v8
	v_add_co_u32_e32 v9, vcc, v9, v11
	v_addc_co_u32_e32 v11, vcc, 0, v13, vcc
	v_mul_lo_u32 v8, v7, v8
	v_add_co_u32_e32 v9, vcc, v9, v10
	v_addc_co_u32_e32 v9, vcc, v11, v12, vcc
	v_addc_co_u32_e32 v10, vcc, 0, v14, vcc
	v_add_co_u32_e32 v8, vcc, v9, v8
	v_addc_co_u32_e32 v9, vcc, 0, v10, vcc
	v_add_co_u32_e32 v4, vcc, v4, v8
	v_addc_co_u32_e32 v7, vcc, v7, v9, vcc
	v_mul_lo_u32 v8, s0, v7
	v_mul_hi_u32 v9, s0, v4
	v_mul_lo_u32 v10, s1, v4
	v_mul_lo_u32 v11, s0, v4
	v_add_u32_e32 v8, v9, v8
	v_add_u32_e32 v8, v8, v10
	v_mul_lo_u32 v12, v4, v8
	v_mul_hi_u32 v13, v4, v11
	v_mul_hi_u32 v14, v4, v8
	;; [unrolled: 1-line block ×3, first 2 shown]
	v_mul_lo_u32 v11, v7, v11
	v_mul_hi_u32 v9, v7, v8
	v_add_co_u32_e32 v12, vcc, v13, v12
	v_addc_co_u32_e32 v13, vcc, 0, v14, vcc
	v_mul_lo_u32 v8, v7, v8
	v_add_co_u32_e32 v11, vcc, v12, v11
	v_addc_co_u32_e32 v10, vcc, v13, v10, vcc
	v_addc_co_u32_e32 v9, vcc, 0, v9, vcc
	v_add_co_u32_e32 v8, vcc, v10, v8
	v_addc_co_u32_e32 v9, vcc, 0, v9, vcc
	v_add_co_u32_e32 v4, vcc, v4, v8
	v_addc_co_u32_e32 v9, vcc, v7, v9, vcc
	v_mad_u64_u32 v[7:8], s[0:1], v5, v9, 0
	v_mul_hi_u32 v10, v5, v4
	v_add_co_u32_e32 v11, vcc, v10, v7
	v_addc_co_u32_e32 v12, vcc, 0, v8, vcc
	v_mad_u64_u32 v[7:8], s[0:1], v6, v4, 0
	v_mad_u64_u32 v[9:10], s[0:1], v6, v9, 0
	v_add_co_u32_e32 v4, vcc, v11, v7
	v_addc_co_u32_e32 v4, vcc, v12, v8, vcc
	v_addc_co_u32_e32 v7, vcc, 0, v10, vcc
	v_add_co_u32_e32 v4, vcc, v4, v9
	v_addc_co_u32_e32 v9, vcc, 0, v7, vcc
	v_mul_lo_u32 v10, s19, v4
	v_mul_lo_u32 v11, s18, v9
	v_mad_u64_u32 v[7:8], s[0:1], s18, v4, 0
	v_add3_u32 v8, v8, v11, v10
	v_sub_u32_e32 v10, v6, v8
	v_mov_b32_e32 v11, s19
	v_sub_co_u32_e32 v7, vcc, v5, v7
	v_subb_co_u32_e64 v10, s[0:1], v10, v11, vcc
	v_subrev_co_u32_e64 v11, s[0:1], s18, v7
	v_subbrev_co_u32_e64 v10, s[0:1], 0, v10, s[0:1]
	v_cmp_le_u32_e64 s[0:1], s19, v10
	v_cndmask_b32_e64 v12, 0, -1, s[0:1]
	v_cmp_le_u32_e64 s[0:1], s18, v11
	v_cndmask_b32_e64 v11, 0, -1, s[0:1]
	v_cmp_eq_u32_e64 s[0:1], s19, v10
	v_cndmask_b32_e64 v10, v12, v11, s[0:1]
	v_add_co_u32_e64 v11, s[0:1], 2, v4
	v_addc_co_u32_e64 v12, s[0:1], 0, v9, s[0:1]
	v_add_co_u32_e64 v13, s[0:1], 1, v4
	v_addc_co_u32_e64 v14, s[0:1], 0, v9, s[0:1]
	v_subb_co_u32_e32 v8, vcc, v6, v8, vcc
	v_cmp_ne_u32_e64 s[0:1], 0, v10
	v_cmp_le_u32_e32 vcc, s19, v8
	v_cndmask_b32_e64 v10, v14, v12, s[0:1]
	v_cndmask_b32_e64 v12, 0, -1, vcc
	v_cmp_le_u32_e32 vcc, s18, v7
	v_cndmask_b32_e64 v7, 0, -1, vcc
	v_cmp_eq_u32_e32 vcc, s19, v8
	v_cndmask_b32_e32 v7, v12, v7, vcc
	v_cmp_ne_u32_e32 vcc, 0, v7
	v_cndmask_b32_e64 v7, v13, v11, s[0:1]
	v_cndmask_b32_e32 v8, v9, v10, vcc
	v_cndmask_b32_e32 v7, v4, v7, vcc
.LBB0_4:                                ;   in Loop: Header=BB0_2 Depth=1
	s_andn2_saveexec_b64 s[0:1], s[20:21]
	s_cbranch_execz .LBB0_6
; %bb.5:                                ;   in Loop: Header=BB0_2 Depth=1
	v_cvt_f32_u32_e32 v4, s18
	s_sub_i32 s20, 0, s18
	v_rcp_iflag_f32_e32 v4, v4
	v_mul_f32_e32 v4, 0x4f7ffffe, v4
	v_cvt_u32_f32_e32 v4, v4
	v_mul_lo_u32 v7, s20, v4
	v_mul_hi_u32 v7, v4, v7
	v_add_u32_e32 v4, v4, v7
	v_mul_hi_u32 v4, v5, v4
	v_mul_lo_u32 v7, v4, s18
	v_add_u32_e32 v8, 1, v4
	v_sub_u32_e32 v7, v5, v7
	v_subrev_u32_e32 v9, s18, v7
	v_cmp_le_u32_e32 vcc, s18, v7
	v_cndmask_b32_e32 v7, v7, v9, vcc
	v_cndmask_b32_e32 v4, v4, v8, vcc
	v_add_u32_e32 v8, 1, v4
	v_cmp_le_u32_e32 vcc, s18, v7
	v_cndmask_b32_e32 v7, v4, v8, vcc
	v_mov_b32_e32 v8, v3
.LBB0_6:                                ;   in Loop: Header=BB0_2 Depth=1
	s_or_b64 exec, exec, s[0:1]
	v_mul_lo_u32 v4, v8, s18
	v_mul_lo_u32 v11, v7, s19
	v_mad_u64_u32 v[9:10], s[0:1], v7, s18, 0
	s_load_dwordx2 s[0:1], s[6:7], 0x0
	s_add_u32 s16, s16, 1
	v_add3_u32 v4, v10, v11, v4
	v_sub_co_u32_e32 v5, vcc, v5, v9
	v_subb_co_u32_e32 v4, vcc, v6, v4, vcc
	s_waitcnt lgkmcnt(0)
	v_mul_lo_u32 v4, s0, v4
	v_mul_lo_u32 v6, s1, v5
	v_mad_u64_u32 v[1:2], s[0:1], s0, v5, v[1:2]
	s_addc_u32 s17, s17, 0
	s_add_u32 s6, s6, 8
	v_add3_u32 v2, v6, v2, v4
	v_mov_b32_e32 v4, s10
	v_mov_b32_e32 v5, s11
	s_addc_u32 s7, s7, 0
	v_cmp_ge_u64_e32 vcc, s[16:17], v[4:5]
	s_add_u32 s14, s14, 8
	s_addc_u32 s15, s15, 0
	s_cbranch_vccnz .LBB0_9
; %bb.7:                                ;   in Loop: Header=BB0_2 Depth=1
	v_mov_b32_e32 v5, v7
	v_mov_b32_e32 v6, v8
	s_branch .LBB0_2
.LBB0_8:
	v_mov_b32_e32 v8, v6
	v_mov_b32_e32 v7, v5
.LBB0_9:
	s_lshl_b64 s[0:1], s[10:11], 3
	s_add_u32 s0, s12, s0
	s_addc_u32 s1, s13, s1
	s_load_dwordx2 s[6:7], s[0:1], 0x0
	s_load_dwordx2 s[10:11], s[4:5], 0x20
	v_mov_b32_e32 v13, 0
                                        ; implicit-def: $vgpr59
                                        ; implicit-def: $vgpr65
                                        ; implicit-def: $vgpr61
                                        ; implicit-def: $vgpr55
                                        ; implicit-def: $vgpr49
                                        ; implicit-def: $vgpr47
                                        ; implicit-def: $vgpr39
                                        ; implicit-def: $vgpr45
                                        ; implicit-def: $vgpr41
                                        ; implicit-def: $vgpr35
                                        ; implicit-def: $vgpr29
                                        ; implicit-def: $vgpr25
                                        ; implicit-def: $vgpr21
                                        ; implicit-def: $vgpr17
                                        ; implicit-def: $vgpr15
                                        ; implicit-def: $vgpr9
                                        ; implicit-def: $vgpr27
                                        ; implicit-def: $vgpr23
                                        ; implicit-def: $vgpr19
                                        ; implicit-def: $vgpr11
                                        ; implicit-def: $vgpr51
                                        ; implicit-def: $vgpr43
                                        ; implicit-def: $vgpr37
                                        ; implicit-def: $vgpr33
                                        ; implicit-def: $vgpr31
                                        ; implicit-def: $vgpr69
                                        ; implicit-def: $vgpr67
                                        ; implicit-def: $vgpr63
                                        ; implicit-def: $vgpr57
                                        ; implicit-def: $vgpr53
	s_waitcnt lgkmcnt(0)
	v_mad_u64_u32 v[1:2], s[0:1], s6, v7, v[1:2]
	s_mov_b32 s0, 0x4a7904b
	v_mul_lo_u32 v3, s6, v8
	v_mul_lo_u32 v4, s7, v7
	v_mul_hi_u32 v5, v0, s0
	v_cmp_gt_u64_e64 s[0:1], s[10:11], v[7:8]
                                        ; implicit-def: $vgpr7
	v_add3_u32 v2, v4, v2, v3
	v_mul_u32_u24_e32 v3, 55, v5
	v_sub_u32_e32 v0, v0, v3
	v_lshlrev_b64 v[2:3], 3, v[1:2]
	v_mov_b32_e32 v1, 0
                                        ; implicit-def: $vgpr5
	s_and_saveexec_b64 s[4:5], s[0:1]
	s_cbranch_execz .LBB0_13
; %bb.10:
	v_mov_b32_e32 v1, 0
	v_mov_b32_e32 v4, s3
	v_add_co_u32_e32 v19, vcc, s2, v2
	v_addc_co_u32_e32 v23, vcc, v4, v3, vcc
	v_lshlrev_b64 v[4:5], 3, v[0:1]
	s_movk_i32 s10, 0x2000
	v_add_co_u32_e32 v70, vcc, v19, v4
	v_addc_co_u32_e32 v71, vcc, v23, v5, vcc
	v_add_co_u32_e32 v4, vcc, 0x1000, v70
	v_addc_co_u32_e32 v5, vcc, 0, v71, vcc
	v_add_co_u32_e32 v6, vcc, 0x2000, v70
	global_load_dwordx2 v[48:49], v[70:71], off offset:4000
	global_load_dwordx2 v[52:53], v[4:5], off offset:1904
	;; [unrolled: 1-line block ×3, first 2 shown]
	v_addc_co_u32_e32 v7, vcc, 0, v71, vcc
	global_load_dwordx2 v[24:25], v[4:5], off offset:1344
	global_load_dwordx2 v[46:47], v[4:5], off offset:904
	;; [unrolled: 1-line block ×11, first 2 shown]
	global_load_dwordx2 v[58:59], v[70:71], off
	global_load_dwordx2 v[60:61], v[70:71], off offset:2000
	global_load_dwordx2 v[44:45], v[70:71], off offset:1440
	;; [unrolled: 1-line block ×3, first 2 shown]
                                        ; kill: killed $vgpr6 killed $vgpr7
                                        ; kill: killed $vgpr4 killed $vgpr5
	global_load_dwordx2 v[38:39], v[70:71], off offset:440
	global_load_dwordx2 v[34:35], v[70:71], off offset:3440
	;; [unrolled: 1-line block ×4, first 2 shown]
	v_cmp_gt_u32_e32 vcc, 15, v0
	v_mov_b32_e32 v13, 0
                                        ; implicit-def: $vgpr6
                                        ; implicit-def: $vgpr10
                                        ; implicit-def: $vgpr18
                                        ; implicit-def: $vgpr22
                                        ; implicit-def: $vgpr26
                                        ; implicit-def: $vgpr4
                                        ; implicit-def: $vgpr8
                                        ; implicit-def: $vgpr14
                                        ; implicit-def: $vgpr16
                                        ; implicit-def: $vgpr20
	s_and_saveexec_b64 s[6:7], vcc
	s_cbranch_execz .LBB0_12
; %bb.11:
	v_add_co_u32_e32 v26, vcc, 0x1000, v70
	v_addc_co_u32_e32 v27, vcc, 0, v71, vcc
	global_load_dwordx2 v[12:13], v[70:71], off offset:880
	global_load_dwordx2 v[20:21], v[70:71], off offset:1880
	;; [unrolled: 1-line block ×8, first 2 shown]
	v_or_b32_e32 v26, 0x550, v0
	v_mov_b32_e32 v27, v1
	v_add_co_u32_e32 v70, vcc, s10, v70
	v_lshlrev_b64 v[26:27], 3, v[26:27]
	v_addc_co_u32_e32 v71, vcc, 0, v71, vcc
	v_add_co_u32_e32 v72, vcc, v19, v26
	v_addc_co_u32_e32 v73, vcc, v23, v27, vcc
	global_load_dwordx2 v[18:19], v[70:71], off offset:688
	global_load_dwordx2 v[22:23], v[70:71], off offset:1688
	global_load_dwordx2 v[26:27], v[72:73], off
	s_waitcnt vmcnt(10)
	v_mov_b32_e32 v1, v12
.LBB0_12:
	s_or_b64 exec, exec, s[6:7]
.LBB0_13:
	s_or_b64 exec, exec, s[4:5]
	s_waitcnt vmcnt(4)
	v_add_f32_e32 v12, v58, v64
	v_add_f32_e32 v12, v12, v60
	s_waitcnt vmcnt(1)
	v_add_f32_e32 v12, v12, v54
	v_add_f32_e32 v12, v12, v48
	;; [unrolled: 1-line block ×6, first 2 shown]
	v_sub_f32_e32 v71, v65, v69
	v_add_f32_e32 v12, v66, v12
	v_mul_f32_e32 v72, 0xbf0a6770, v71
	v_mul_f32_e32 v74, 0xbf68dda4, v71
	;; [unrolled: 1-line block ×5, first 2 shown]
	v_add_f32_e32 v70, v68, v12
	v_add_f32_e32 v12, v68, v64
	s_mov_b32 s10, 0x3f575c64
	v_mov_b32_e32 v73, v72
	s_mov_b32 s6, 0x3ed4b147
	v_mov_b32_e32 v75, v74
	;; [unrolled: 2-line block ×5, first 2 shown]
	v_fmac_f32_e32 v73, 0x3f575c64, v12
	v_fma_f32 v72, v12, s10, -v72
	v_fmac_f32_e32 v75, 0x3ed4b147, v12
	v_fma_f32 v74, v12, s6, -v74
	;; [unrolled: 2-line block ×5, first 2 shown]
	v_sub_f32_e32 v71, v61, v67
	v_add_f32_e32 v73, v73, v58
	v_add_f32_e32 v72, v72, v58
	;; [unrolled: 1-line block ×11, first 2 shown]
	v_mul_f32_e32 v81, 0xbf68dda4, v71
	v_mov_b32_e32 v82, v81
	v_fma_f32 v81, v58, s6, -v81
	v_fmac_f32_e32 v82, 0x3ed4b147, v58
	v_add_f32_e32 v72, v72, v81
	v_mul_f32_e32 v81, 0xbf4178ce, v71
	v_add_f32_e32 v73, v73, v82
	v_mov_b32_e32 v82, v81
	v_fma_f32 v81, v58, s11, -v81
	v_fmac_f32_e32 v82, 0xbf27a4f4, v58
	v_add_f32_e32 v74, v74, v81
	v_mul_f32_e32 v81, 0x3e903f40, v71
	v_add_f32_e32 v75, v75, v82
	v_mov_b32_e32 v82, v81
	v_fma_f32 v81, v58, s12, -v81
	v_fmac_f32_e32 v82, 0xbf75a155, v58
	v_add_f32_e32 v76, v76, v81
	v_mul_f32_e32 v81, 0x3f7d64f0, v71
	v_add_f32_e32 v77, v77, v82
	v_mov_b32_e32 v82, v81
	v_fma_f32 v81, v58, s7, -v81
	v_mul_f32_e32 v71, 0x3f0a6770, v71
	v_add_f32_e32 v78, v78, v81
	v_mov_b32_e32 v81, v71
	v_fmac_f32_e32 v82, 0xbe11bafb, v58
	v_fmac_f32_e32 v81, 0x3f575c64, v58
	v_fma_f32 v58, v58, s10, -v71
	v_sub_f32_e32 v71, v55, v63
	v_add_f32_e32 v80, v80, v81
	v_add_f32_e32 v12, v12, v58
	v_add_f32_e32 v58, v62, v54
	v_mul_f32_e32 v81, 0xbf7d64f0, v71
	v_add_f32_e32 v79, v79, v82
	v_mov_b32_e32 v82, v81
	v_fma_f32 v81, v58, s7, -v81
	v_fmac_f32_e32 v82, 0xbe11bafb, v58
	v_add_f32_e32 v72, v72, v81
	v_mul_f32_e32 v81, 0x3e903f40, v71
	v_add_f32_e32 v73, v73, v82
	v_mov_b32_e32 v82, v81
	v_fma_f32 v81, v58, s12, -v81
	v_fmac_f32_e32 v82, 0xbf75a155, v58
	v_add_f32_e32 v74, v74, v81
	v_mul_f32_e32 v81, 0x3f68dda4, v71
	v_add_f32_e32 v75, v75, v82
	v_mov_b32_e32 v82, v81
	v_fma_f32 v81, v58, s6, -v81
	v_fmac_f32_e32 v82, 0x3ed4b147, v58
	v_add_f32_e32 v76, v76, v81
	v_mul_f32_e32 v81, 0xbf0a6770, v71
	v_add_f32_e32 v77, v77, v82
	v_mov_b32_e32 v82, v81
	v_fma_f32 v81, v58, s10, -v81
	v_mul_f32_e32 v71, 0xbf4178ce, v71
	v_add_f32_e32 v78, v78, v81
	v_mov_b32_e32 v81, v71
	v_fmac_f32_e32 v82, 0x3f575c64, v58
	v_fmac_f32_e32 v81, 0xbf27a4f4, v58
	v_fma_f32 v58, v58, s11, -v71
	v_sub_f32_e32 v71, v49, v57
	v_add_f32_e32 v80, v80, v81
	v_add_f32_e32 v12, v12, v58
	v_add_f32_e32 v58, v56, v48
	v_mul_f32_e32 v81, 0xbf4178ce, v71
	v_add_f32_e32 v79, v79, v82
	;; [unrolled: 32-line block ×3, first 2 shown]
	v_mov_b32_e32 v82, v81
	v_fma_f32 v81, v58, s12, -v81
	v_fmac_f32_e32 v82, 0xbf75a155, v58
	v_add_f32_e32 v72, v72, v81
	v_mul_f32_e32 v81, 0x3f0a6770, v71
	v_add_f32_e32 v73, v73, v82
	v_mov_b32_e32 v82, v81
	v_fma_f32 v81, v58, s10, -v81
	v_fmac_f32_e32 v82, 0x3f575c64, v58
	v_add_f32_e32 v74, v74, v81
	v_mul_f32_e32 v81, 0xbf4178ce, v71
	v_add_f32_e32 v75, v75, v82
	v_mov_b32_e32 v82, v81
	v_fma_f32 v81, v58, s11, -v81
	v_fmac_f32_e32 v82, 0xbf27a4f4, v58
	v_add_f32_e32 v76, v76, v81
	v_mul_f32_e32 v81, 0x3f68dda4, v71
	v_add_f32_e32 v77, v77, v82
	v_mov_b32_e32 v82, v81
	v_fma_f32 v81, v58, s6, -v81
	v_mul_f32_e32 v71, 0xbf7d64f0, v71
	v_add_f32_e32 v78, v78, v81
	v_mov_b32_e32 v81, v71
	v_fmac_f32_e32 v82, 0x3ed4b147, v58
	v_fmac_f32_e32 v81, 0xbe11bafb, v58
	v_fma_f32 v58, v58, s7, -v71
	v_add_f32_e32 v58, v12, v58
	v_add_f32_e32 v12, v38, v44
	s_waitcnt vmcnt(0)
	v_add_f32_e32 v12, v12, v40
	v_add_f32_e32 v12, v12, v34
	;; [unrolled: 1-line block ×8, first 2 shown]
	v_sub_f32_e32 v81, v45, v51
	v_add_f32_e32 v79, v79, v82
	v_add_f32_e32 v12, v42, v12
	v_mul_f32_e32 v82, 0xbf0a6770, v81
	v_mul_f32_e32 v84, 0xbf68dda4, v81
	;; [unrolled: 1-line block ×5, first 2 shown]
	v_add_f32_e32 v71, v50, v12
	v_add_f32_e32 v12, v50, v44
	v_mov_b32_e32 v83, v82
	v_mov_b32_e32 v85, v84
	;; [unrolled: 1-line block ×5, first 2 shown]
	v_fmac_f32_e32 v83, 0x3f575c64, v12
	v_fma_f32 v82, v12, s10, -v82
	v_fmac_f32_e32 v85, 0x3ed4b147, v12
	v_fma_f32 v84, v12, s6, -v84
	;; [unrolled: 2-line block ×5, first 2 shown]
	v_sub_f32_e32 v81, v41, v43
	v_add_f32_e32 v83, v83, v38
	v_add_f32_e32 v82, v82, v38
	;; [unrolled: 1-line block ×11, first 2 shown]
	v_mul_f32_e32 v91, 0xbf68dda4, v81
	v_mov_b32_e32 v92, v91
	v_fma_f32 v91, v38, s6, -v91
	v_fmac_f32_e32 v92, 0x3ed4b147, v38
	v_add_f32_e32 v82, v82, v91
	v_mul_f32_e32 v91, 0xbf4178ce, v81
	v_add_f32_e32 v83, v83, v92
	v_mov_b32_e32 v92, v91
	v_fma_f32 v91, v38, s11, -v91
	v_fmac_f32_e32 v92, 0xbf27a4f4, v38
	v_add_f32_e32 v84, v84, v91
	v_mul_f32_e32 v91, 0x3e903f40, v81
	v_add_f32_e32 v85, v85, v92
	v_mov_b32_e32 v92, v91
	v_fma_f32 v91, v38, s12, -v91
	v_fmac_f32_e32 v92, 0xbf75a155, v38
	v_add_f32_e32 v86, v86, v91
	v_mul_f32_e32 v91, 0x3f7d64f0, v81
	v_add_f32_e32 v87, v87, v92
	v_mov_b32_e32 v92, v91
	v_fma_f32 v91, v38, s7, -v91
	v_mul_f32_e32 v81, 0x3f0a6770, v81
	v_add_f32_e32 v88, v88, v91
	v_mov_b32_e32 v91, v81
	v_fmac_f32_e32 v92, 0xbe11bafb, v38
	v_fmac_f32_e32 v91, 0x3f575c64, v38
	v_fma_f32 v38, v38, s10, -v81
	v_sub_f32_e32 v81, v35, v37
	v_add_f32_e32 v90, v90, v91
	v_add_f32_e32 v12, v12, v38
	v_add_f32_e32 v38, v36, v34
	v_mul_f32_e32 v91, 0xbf7d64f0, v81
	v_add_f32_e32 v89, v89, v92
	v_mov_b32_e32 v92, v91
	v_fma_f32 v91, v38, s7, -v91
	v_fmac_f32_e32 v92, 0xbe11bafb, v38
	v_add_f32_e32 v82, v82, v91
	v_mul_f32_e32 v91, 0x3e903f40, v81
	v_add_f32_e32 v83, v83, v92
	v_mov_b32_e32 v92, v91
	v_fma_f32 v91, v38, s12, -v91
	v_fmac_f32_e32 v92, 0xbf75a155, v38
	v_add_f32_e32 v84, v84, v91
	v_mul_f32_e32 v91, 0x3f68dda4, v81
	v_add_f32_e32 v85, v85, v92
	v_mov_b32_e32 v92, v91
	v_fma_f32 v91, v38, s6, -v91
	v_fmac_f32_e32 v92, 0x3ed4b147, v38
	v_add_f32_e32 v86, v86, v91
	v_mul_f32_e32 v91, 0xbf0a6770, v81
	v_add_f32_e32 v87, v87, v92
	v_mov_b32_e32 v92, v91
	v_fma_f32 v91, v38, s10, -v91
	v_mul_f32_e32 v81, 0xbf4178ce, v81
	v_add_f32_e32 v88, v88, v91
	v_mov_b32_e32 v91, v81
	v_fmac_f32_e32 v92, 0x3f575c64, v38
	v_fmac_f32_e32 v91, 0xbf27a4f4, v38
	v_fma_f32 v38, v38, s11, -v81
	v_sub_f32_e32 v81, v29, v33
	v_add_f32_e32 v90, v90, v91
	v_add_f32_e32 v12, v12, v38
	v_add_f32_e32 v38, v32, v28
	v_mul_f32_e32 v91, 0xbf4178ce, v81
	v_add_f32_e32 v89, v89, v92
	;; [unrolled: 32-line block ×3, first 2 shown]
	v_mov_b32_e32 v92, v91
	v_fma_f32 v91, v38, s12, -v91
	v_fmac_f32_e32 v92, 0xbf75a155, v38
	v_add_f32_e32 v82, v82, v91
	v_mul_f32_e32 v91, 0x3f0a6770, v81
	v_add_f32_e32 v83, v83, v92
	v_mov_b32_e32 v92, v91
	v_fma_f32 v91, v38, s10, -v91
	v_fmac_f32_e32 v92, 0x3f575c64, v38
	v_add_f32_e32 v84, v84, v91
	v_mul_f32_e32 v91, 0xbf4178ce, v81
	v_add_f32_e32 v85, v85, v92
	;; [unrolled: 6-line block ×3, first 2 shown]
	v_mov_b32_e32 v92, v91
	v_fma_f32 v91, v38, s6, -v91
	v_mul_f32_e32 v81, 0xbf7d64f0, v81
	v_add_f32_e32 v88, v88, v91
	v_mov_b32_e32 v91, v81
	v_fmac_f32_e32 v92, 0x3ed4b147, v38
	v_fmac_f32_e32 v91, 0xbe11bafb, v38
	v_fma_f32 v38, v38, s7, -v81
	v_add_f32_e32 v38, v12, v38
	v_mad_u32_u24 v12, v0, 44, 0
	ds_write2_b32 v12, v70, v73 offset1:1
	ds_write2_b32 v12, v75, v77 offset0:2 offset1:3
	ds_write2_b32 v12, v79, v80 offset0:4 offset1:5
	;; [unrolled: 1-line block ×4, first 2 shown]
	ds_write_b32 v12, v72 offset:40
	v_add_u32_e32 v70, 0x974, v12
	v_add_f32_e32 v89, v89, v92
	v_add_f32_e32 v90, v90, v91
	ds_write2_b32 v70, v71, v83 offset1:1
	v_add_u32_e32 v71, 0x97c, v12
	v_add_u32_e32 v72, 0x984, v12
	;; [unrolled: 1-line block ×4, first 2 shown]
	v_cmp_gt_u32_e32 vcc, 15, v0
	ds_write2_b32 v71, v85, v87 offset1:1
	ds_write2_b32 v72, v89, v90 offset1:1
	;; [unrolled: 1-line block ×4, first 2 shown]
	ds_write_b32 v12, v82 offset:2460
	s_and_saveexec_b64 s[4:5], vcc
	s_cbranch_execz .LBB0_15
; %bb.14:
	v_add_f32_e32 v38, v20, v26
	v_mul_f32_e32 v58, 0xbf75a155, v38
	v_add_f32_e32 v77, v16, v22
	v_sub_f32_e32 v75, v21, v27
	v_mov_b32_e32 v76, v58
	v_mul_f32_e32 v78, 0x3f575c64, v77
	v_fmac_f32_e32 v76, 0x3e903f40, v75
	v_sub_f32_e32 v79, v17, v23
	v_mov_b32_e32 v80, v78
	v_add_f32_e32 v76, v1, v76
	v_fmac_f32_e32 v80, 0xbf0a6770, v79
	v_add_f32_e32 v76, v76, v80
	v_add_f32_e32 v80, v14, v18
	v_mul_f32_e32 v81, 0xbf27a4f4, v80
	v_sub_f32_e32 v82, v15, v19
	v_mov_b32_e32 v83, v81
	v_fmac_f32_e32 v83, 0x3f4178ce, v82
	v_add_f32_e32 v76, v76, v83
	v_add_f32_e32 v83, v8, v10
	v_mul_f32_e32 v84, 0x3ed4b147, v83
	v_sub_f32_e32 v85, v9, v11
	v_mov_b32_e32 v86, v84
	v_fmac_f32_e32 v58, 0xbe903f40, v75
	v_fmac_f32_e32 v86, 0xbf68dda4, v85
	v_add_f32_e32 v58, v1, v58
	v_fmac_f32_e32 v78, 0x3f0a6770, v79
	v_add_f32_e32 v76, v76, v86
	v_add_f32_e32 v86, v4, v6
	;; [unrolled: 1-line block ×3, first 2 shown]
	v_fmac_f32_e32 v81, 0xbf4178ce, v82
	v_mul_f32_e32 v87, 0xbe11bafb, v86
	v_sub_f32_e32 v88, v5, v7
	v_add_f32_e32 v58, v58, v81
	v_fmac_f32_e32 v84, 0x3f68dda4, v85
	v_mul_f32_e32 v78, 0xbf27a4f4, v38
	v_mov_b32_e32 v89, v87
	v_add_f32_e32 v58, v58, v84
	v_fmac_f32_e32 v87, 0xbf7d64f0, v88
	v_mov_b32_e32 v81, v78
	v_mul_f32_e32 v84, 0xbe11bafb, v77
	v_add_f32_e32 v58, v58, v87
	v_fmac_f32_e32 v81, 0x3f4178ce, v75
	v_mov_b32_e32 v87, v84
	v_add_f32_e32 v81, v1, v81
	v_fmac_f32_e32 v87, 0xbf7d64f0, v79
	v_fmac_f32_e32 v89, 0x3f7d64f0, v88
	v_add_f32_e32 v81, v81, v87
	v_mul_f32_e32 v87, 0x3f575c64, v80
	v_add_f32_e32 v76, v76, v89
	v_mov_b32_e32 v89, v87
	v_fmac_f32_e32 v89, 0x3f0a6770, v82
	v_add_f32_e32 v81, v81, v89
	v_mul_f32_e32 v89, 0xbf75a155, v83
	v_fmac_f32_e32 v78, 0xbf4178ce, v75
	v_mov_b32_e32 v90, v89
	v_add_f32_e32 v78, v1, v78
	v_fmac_f32_e32 v84, 0x3f7d64f0, v79
	v_fmac_f32_e32 v90, 0x3e903f40, v85
	v_add_f32_e32 v78, v78, v84
	v_fmac_f32_e32 v87, 0xbf0a6770, v82
	v_add_f32_e32 v81, v81, v90
	v_mul_f32_e32 v90, 0x3ed4b147, v86
	v_add_f32_e32 v78, v78, v87
	v_fmac_f32_e32 v89, 0xbe903f40, v85
	v_mul_f32_e32 v84, 0xbe11bafb, v38
	v_mov_b32_e32 v91, v90
	v_add_f32_e32 v78, v78, v89
	v_fmac_f32_e32 v90, 0x3f68dda4, v88
	v_mov_b32_e32 v87, v84
	v_mul_f32_e32 v89, 0xbf75a155, v77
	v_add_f32_e32 v78, v78, v90
	v_fmac_f32_e32 v87, 0x3f7d64f0, v75
	v_mov_b32_e32 v90, v89
	v_add_f32_e32 v87, v1, v87
	v_fmac_f32_e32 v90, 0xbe903f40, v79
	v_fmac_f32_e32 v91, 0xbf68dda4, v88
	v_add_f32_e32 v87, v87, v90
	v_mul_f32_e32 v90, 0x3ed4b147, v80
	v_add_f32_e32 v81, v81, v91
	v_mov_b32_e32 v91, v90
	v_fmac_f32_e32 v91, 0xbf68dda4, v82
	v_add_f32_e32 v87, v87, v91
	v_mul_f32_e32 v91, 0x3f575c64, v83
	v_fmac_f32_e32 v84, 0xbf7d64f0, v75
	v_mov_b32_e32 v92, v91
	v_add_f32_e32 v84, v1, v84
	v_fmac_f32_e32 v89, 0x3e903f40, v79
	v_fmac_f32_e32 v92, 0x3f0a6770, v85
	v_add_f32_e32 v84, v84, v89
	v_fmac_f32_e32 v90, 0x3f68dda4, v82
	v_add_f32_e32 v87, v87, v92
	v_mul_f32_e32 v92, 0xbf27a4f4, v86
	v_add_f32_e32 v84, v84, v90
	v_fmac_f32_e32 v91, 0xbf0a6770, v85
	v_mul_f32_e32 v89, 0x3ed4b147, v38
	v_mov_b32_e32 v93, v92
	v_add_f32_e32 v84, v84, v91
	v_fmac_f32_e32 v92, 0xbf4178ce, v88
	v_mov_b32_e32 v90, v89
	v_mul_f32_e32 v91, 0xbf27a4f4, v77
	v_fmac_f32_e32 v89, 0xbf68dda4, v75
	v_add_f32_e32 v84, v84, v92
	v_mov_b32_e32 v92, v91
	v_add_f32_e32 v89, v1, v89
	v_fmac_f32_e32 v91, 0xbf4178ce, v79
	v_mul_f32_e32 v38, 0x3f575c64, v38
	v_fmac_f32_e32 v90, 0x3f68dda4, v75
	v_add_f32_e32 v89, v89, v91
	v_mov_b32_e32 v91, v38
	v_add_f32_e32 v90, v1, v90
	v_fmac_f32_e32 v92, 0x3f4178ce, v79
	v_fmac_f32_e32 v91, 0x3f0a6770, v75
	;; [unrolled: 1-line block ×4, first 2 shown]
	v_add_f32_e32 v90, v90, v92
	v_mul_f32_e32 v92, 0xbf75a155, v80
	v_add_f32_e32 v91, v1, v91
	v_add_f32_e32 v38, v1, v38
	v_add_f32_e32 v1, v1, v20
	v_add_f32_e32 v87, v87, v93
	v_mov_b32_e32 v93, v92
	v_fmac_f32_e32 v92, 0x3e903f40, v82
	v_mul_f32_e32 v77, 0x3ed4b147, v77
	v_add_f32_e32 v1, v1, v16
	v_add_f32_e32 v89, v89, v92
	v_mov_b32_e32 v92, v77
	v_add_f32_e32 v1, v1, v14
	v_fmac_f32_e32 v93, 0xbe903f40, v82
	v_fmac_f32_e32 v92, 0x3f68dda4, v79
	v_mul_f32_e32 v80, 0xbe11bafb, v80
	v_add_f32_e32 v1, v1, v8
	v_add_f32_e32 v90, v90, v93
	v_mul_f32_e32 v93, 0xbe11bafb, v83
	v_add_f32_e32 v91, v91, v92
	v_mov_b32_e32 v92, v80
	v_add_f32_e32 v1, v1, v4
	v_mov_b32_e32 v94, v93
	v_fmac_f32_e32 v92, 0x3f7d64f0, v82
	v_mul_f32_e32 v83, 0xbf27a4f4, v83
	v_fmac_f32_e32 v77, 0xbf68dda4, v79
	v_add_f32_e32 v1, v1, v6
	v_fmac_f32_e32 v94, 0xbf7d64f0, v85
	v_add_f32_e32 v91, v91, v92
	v_mov_b32_e32 v92, v83
	v_add_f32_e32 v38, v38, v77
	v_fmac_f32_e32 v80, 0xbf7d64f0, v82
	v_add_f32_e32 v1, v10, v1
	v_add_f32_e32 v90, v90, v94
	v_mul_f32_e32 v94, 0x3f575c64, v86
	v_fmac_f32_e32 v92, 0x3f4178ce, v85
	v_mul_f32_e32 v86, 0xbf75a155, v86
	v_add_f32_e32 v38, v38, v80
	v_fmac_f32_e32 v83, 0xbf4178ce, v85
	v_add_f32_e32 v1, v18, v1
	v_fmac_f32_e32 v93, 0x3f7d64f0, v85
	v_add_f32_e32 v91, v91, v92
	v_mov_b32_e32 v92, v86
	v_add_f32_e32 v38, v38, v83
	v_fmac_f32_e32 v86, 0xbe903f40, v88
	v_add_f32_e32 v1, v22, v1
	v_mov_b32_e32 v95, v94
	v_add_f32_e32 v89, v89, v93
	v_fmac_f32_e32 v94, 0x3f0a6770, v88
	v_add_f32_e32 v38, v38, v86
	v_add_f32_e32 v1, v26, v1
	v_add_u32_e32 v75, 0x12e8, v12
	v_add_f32_e32 v89, v89, v94
	ds_write2_b32 v75, v1, v38 offset1:1
	v_add_u32_e32 v1, 0x12f0, v12
	ds_write2_b32 v1, v89, v84 offset1:1
	v_add_u32_e32 v1, 0x12f8, v12
	v_fmac_f32_e32 v95, 0xbf0a6770, v88
	ds_write2_b32 v1, v78, v58 offset1:1
	v_add_u32_e32 v1, 0x1300, v12
	v_add_f32_e32 v90, v90, v95
	v_fmac_f32_e32 v92, 0x3e903f40, v88
	ds_write2_b32 v1, v76, v81 offset1:1
	v_add_u32_e32 v1, 0x1308, v12
	v_add_f32_e32 v91, v91, v92
	ds_write2_b32 v1, v87, v90 offset1:1
	ds_write_b32 v12, v91 offset:4880
.LBB0_15:
	s_or_b64 exec, exec, s[4:5]
	v_add_f32_e32 v1, v59, v65
	v_add_f32_e32 v1, v1, v61
	v_add_f32_e32 v1, v1, v55
	v_add_f32_e32 v1, v1, v49
	v_add_f32_e32 v1, v1, v47
	v_add_f32_e32 v1, v1, v53
	v_add_f32_e32 v1, v57, v1
	v_add_f32_e32 v1, v63, v1
	v_add_f32_e32 v1, v67, v1
	v_sub_f32_e32 v38, v64, v68
	v_add_f32_e32 v75, v69, v1
	v_add_f32_e32 v1, v69, v65
	v_mul_f32_e32 v58, 0xbf0a6770, v38
	v_mul_f32_e32 v65, 0xbf68dda4, v38
	;; [unrolled: 1-line block ×5, first 2 shown]
	v_fma_f32 v64, v1, s10, -v58
	v_fmac_f32_e32 v58, 0x3f575c64, v1
	v_fma_f32 v68, v1, s6, -v65
	v_fmac_f32_e32 v65, 0x3ed4b147, v1
	;; [unrolled: 2-line block ×5, first 2 shown]
	v_add_f32_e32 v64, v64, v59
	v_add_f32_e32 v58, v58, v59
	;; [unrolled: 1-line block ×10, first 2 shown]
	v_sub_f32_e32 v59, v60, v66
	v_add_f32_e32 v38, v67, v61
	v_mul_f32_e32 v60, 0xbf68dda4, v59
	v_fma_f32 v61, v38, s6, -v60
	v_fmac_f32_e32 v60, 0x3ed4b147, v38
	v_add_f32_e32 v58, v58, v60
	v_mul_f32_e32 v60, 0xbf4178ce, v59
	v_add_f32_e32 v61, v64, v61
	v_fma_f32 v64, v38, s11, -v60
	v_fmac_f32_e32 v60, 0xbf27a4f4, v38
	v_add_f32_e32 v60, v65, v60
	v_mul_f32_e32 v65, 0x3e903f40, v59
	v_fma_f32 v66, v38, s12, -v65
	v_fmac_f32_e32 v65, 0xbf75a155, v38
	v_mul_f32_e32 v67, 0x3f7d64f0, v59
	v_mul_f32_e32 v59, 0x3f0a6770, v59
	v_sub_f32_e32 v54, v54, v62
	v_add_f32_e32 v64, v68, v64
	v_add_f32_e32 v65, v69, v65
	v_fma_f32 v68, v38, s7, -v67
	v_fmac_f32_e32 v67, 0xbe11bafb, v38
	v_fma_f32 v69, v38, s10, -v59
	v_fmac_f32_e32 v59, 0x3f575c64, v38
	v_add_f32_e32 v38, v63, v55
	v_mul_f32_e32 v55, 0xbf7d64f0, v54
	v_add_f32_e32 v1, v1, v59
	v_fma_f32 v59, v38, s7, -v55
	v_fmac_f32_e32 v55, 0xbe11bafb, v38
	v_add_f32_e32 v55, v58, v55
	v_mul_f32_e32 v58, 0x3e903f40, v54
	v_add_f32_e32 v59, v61, v59
	v_fma_f32 v61, v38, s12, -v58
	v_fmac_f32_e32 v58, 0xbf75a155, v38
	v_add_f32_e32 v58, v60, v58
	v_mul_f32_e32 v60, 0x3f68dda4, v54
	v_fma_f32 v62, v38, s6, -v60
	v_fmac_f32_e32 v60, 0x3ed4b147, v38
	v_mul_f32_e32 v63, 0xbf0a6770, v54
	v_mul_f32_e32 v54, 0xbf4178ce, v54
	v_sub_f32_e32 v48, v48, v56
	v_add_f32_e32 v61, v64, v61
	v_add_f32_e32 v60, v65, v60
	v_fma_f32 v64, v38, s10, -v63
	v_fmac_f32_e32 v63, 0x3f575c64, v38
	v_fma_f32 v65, v38, s11, -v54
	v_fmac_f32_e32 v54, 0xbf27a4f4, v38
	v_add_f32_e32 v38, v57, v49
	v_mul_f32_e32 v49, 0xbf4178ce, v48
	v_add_f32_e32 v1, v1, v54
	v_fma_f32 v54, v38, s11, -v49
	v_fmac_f32_e32 v49, 0xbf27a4f4, v38
	v_add_f32_e32 v49, v55, v49
	v_mul_f32_e32 v55, 0x3f7d64f0, v48
	v_fma_f32 v56, v38, s7, -v55
	v_fmac_f32_e32 v55, 0xbe11bafb, v38
	v_mul_f32_e32 v57, 0xbf0a6770, v48
	v_add_f32_e32 v54, v59, v54
	v_add_f32_e32 v55, v58, v55
	v_fma_f32 v58, v38, s10, -v57
	v_fmac_f32_e32 v57, 0x3f575c64, v38
	v_mul_f32_e32 v59, 0xbe903f40, v48
	v_mul_f32_e32 v48, 0x3f68dda4, v48
	v_sub_f32_e32 v46, v46, v52
	v_add_f32_e32 v66, v76, v66
	v_add_f32_e32 v56, v61, v56
	;; [unrolled: 1-line block ×3, first 2 shown]
	v_fma_f32 v60, v38, s12, -v59
	v_fmac_f32_e32 v59, 0xbf75a155, v38
	v_fma_f32 v61, v38, s6, -v48
	v_fmac_f32_e32 v48, 0x3ed4b147, v38
	v_add_f32_e32 v38, v53, v47
	v_mul_f32_e32 v47, 0xbe903f40, v46
	v_add_f32_e32 v62, v66, v62
	v_add_f32_e32 v1, v1, v48
	v_fma_f32 v48, v38, s12, -v47
	v_fmac_f32_e32 v47, 0xbf75a155, v38
	v_add_f32_e32 v68, v78, v68
	v_add_f32_e32 v58, v62, v58
	;; [unrolled: 1-line block ×3, first 2 shown]
	v_mul_f32_e32 v47, 0x3f0a6770, v46
	v_add_f32_e32 v67, v77, v67
	v_add_f32_e32 v64, v68, v64
	;; [unrolled: 1-line block ×3, first 2 shown]
	v_fma_f32 v48, v38, s10, -v47
	v_fmac_f32_e32 v47, 0x3f575c64, v38
	v_add_f32_e32 v63, v67, v63
	v_add_f32_e32 v60, v64, v60
	;; [unrolled: 1-line block ×3, first 2 shown]
	v_mul_f32_e32 v47, 0xbf4178ce, v46
	v_add_f32_e32 v69, v79, v69
	v_add_f32_e32 v59, v63, v59
	;; [unrolled: 1-line block ×3, first 2 shown]
	v_fma_f32 v48, v38, s11, -v47
	v_fmac_f32_e32 v47, 0xbf27a4f4, v38
	v_add_f32_e32 v65, v69, v65
	v_add_f32_e32 v66, v57, v47
	v_mul_f32_e32 v47, 0x3f68dda4, v46
	v_add_f32_e32 v61, v65, v61
	v_add_f32_e32 v65, v58, v48
	v_fma_f32 v48, v38, s6, -v47
	v_fmac_f32_e32 v47, 0x3ed4b147, v38
	v_mul_f32_e32 v46, 0xbf7d64f0, v46
	v_add_f32_e32 v67, v59, v47
	v_fma_f32 v47, v38, s7, -v46
	v_fmac_f32_e32 v46, 0xbe11bafb, v38
	v_add_f32_e32 v68, v1, v46
	v_add_f32_e32 v1, v39, v45
	;; [unrolled: 1-line block ×10, first 2 shown]
	v_sub_f32_e32 v38, v44, v50
	v_add_f32_e32 v60, v60, v48
	v_add_f32_e32 v69, v51, v1
	v_add_f32_e32 v1, v51, v45
	v_mul_f32_e32 v44, 0xbf0a6770, v38
	v_mul_f32_e32 v46, 0xbf68dda4, v38
	;; [unrolled: 1-line block ×5, first 2 shown]
	v_add_f32_e32 v61, v61, v47
	v_fma_f32 v45, v1, s10, -v44
	v_fmac_f32_e32 v44, 0x3f575c64, v1
	v_fma_f32 v47, v1, s6, -v46
	v_fmac_f32_e32 v46, 0x3ed4b147, v1
	v_fma_f32 v49, v1, s7, -v48
	v_fmac_f32_e32 v48, 0xbe11bafb, v1
	v_fma_f32 v51, v1, s11, -v50
	v_fmac_f32_e32 v50, 0xbf27a4f4, v1
	v_fma_f32 v52, v1, s12, -v38
	v_fmac_f32_e32 v38, 0xbf75a155, v1
	v_add_f32_e32 v45, v45, v39
	v_add_f32_e32 v44, v44, v39
	;; [unrolled: 1-line block ×10, first 2 shown]
	v_sub_f32_e32 v39, v40, v42
	v_add_f32_e32 v38, v43, v41
	v_mul_f32_e32 v40, 0xbf68dda4, v39
	v_fma_f32 v41, v38, s6, -v40
	v_fmac_f32_e32 v40, 0x3ed4b147, v38
	v_mul_f32_e32 v42, 0xbf4178ce, v39
	v_add_f32_e32 v40, v44, v40
	v_fma_f32 v43, v38, s11, -v42
	v_fmac_f32_e32 v42, 0xbf27a4f4, v38
	v_mul_f32_e32 v44, 0x3e903f40, v39
	v_sub_f32_e32 v34, v34, v36
	v_add_f32_e32 v41, v45, v41
	v_add_f32_e32 v42, v46, v42
	v_fma_f32 v45, v38, s12, -v44
	v_fmac_f32_e32 v44, 0xbf75a155, v38
	v_mul_f32_e32 v46, 0x3f7d64f0, v39
	v_mul_f32_e32 v39, 0x3f0a6770, v39
	v_add_f32_e32 v35, v37, v35
	v_mul_f32_e32 v36, 0xbf7d64f0, v34
	v_add_f32_e32 v43, v47, v43
	v_add_f32_e32 v44, v48, v44
	v_fma_f32 v47, v38, s7, -v46
	v_fmac_f32_e32 v46, 0xbe11bafb, v38
	v_fma_f32 v48, v38, s10, -v39
	v_fmac_f32_e32 v39, 0x3f575c64, v38
	;; [unrolled: 2-line block ×3, first 2 shown]
	v_mul_f32_e32 v38, 0x3e903f40, v34
	v_add_f32_e32 v1, v1, v39
	v_add_f32_e32 v36, v40, v36
	v_fma_f32 v39, v35, s12, -v38
	v_fmac_f32_e32 v38, 0xbf75a155, v35
	v_mul_f32_e32 v40, 0x3f68dda4, v34
	v_add_f32_e32 v37, v41, v37
	v_add_f32_e32 v38, v42, v38
	v_fma_f32 v41, v35, s6, -v40
	v_fmac_f32_e32 v40, 0x3ed4b147, v35
	v_mul_f32_e32 v42, 0xbf0a6770, v34
	v_mul_f32_e32 v34, 0xbf4178ce, v34
	v_sub_f32_e32 v28, v28, v32
	v_add_f32_e32 v40, v44, v40
	v_fma_f32 v44, v35, s11, -v34
	v_fmac_f32_e32 v34, 0xbf27a4f4, v35
	v_add_f32_e32 v29, v33, v29
	v_mul_f32_e32 v32, 0xbf4178ce, v28
	v_add_f32_e32 v1, v1, v34
	v_fma_f32 v33, v29, s11, -v32
	v_fmac_f32_e32 v32, 0xbf27a4f4, v29
	v_mul_f32_e32 v34, 0x3f7d64f0, v28
	v_add_f32_e32 v39, v43, v39
	v_fma_f32 v43, v35, s10, -v42
	v_fmac_f32_e32 v42, 0x3f575c64, v35
	v_add_f32_e32 v32, v36, v32
	v_fma_f32 v35, v29, s7, -v34
	v_fmac_f32_e32 v34, 0xbe11bafb, v29
	v_mul_f32_e32 v36, 0xbf0a6770, v28
	v_add_f32_e32 v33, v37, v33
	v_add_f32_e32 v34, v38, v34
	v_fma_f32 v37, v29, s10, -v36
	v_fmac_f32_e32 v36, 0x3f575c64, v29
	v_mul_f32_e32 v38, 0xbe903f40, v28
	v_mul_f32_e32 v28, 0x3f68dda4, v28
	v_add_f32_e32 v36, v40, v36
	v_fma_f32 v40, v29, s6, -v28
	v_fmac_f32_e32 v28, 0x3ed4b147, v29
	v_sub_f32_e32 v24, v24, v30
	v_add_f32_e32 v1, v1, v28
	v_add_f32_e32 v25, v31, v25
	v_mul_f32_e32 v28, 0xbe903f40, v24
	v_add_f32_e32 v35, v39, v35
	v_fma_f32 v39, v29, s12, -v38
	v_fmac_f32_e32 v38, 0xbf75a155, v29
	v_fma_f32 v29, v25, s12, -v28
	v_fmac_f32_e32 v28, 0xbf75a155, v25
	v_add_f32_e32 v76, v32, v28
	v_mul_f32_e32 v28, 0x3f0a6770, v24
	v_add_f32_e32 v47, v51, v47
	v_add_f32_e32 v51, v33, v29
	v_fma_f32 v29, v25, s10, -v28
	v_fmac_f32_e32 v28, 0x3f575c64, v25
	v_add_f32_e32 v45, v49, v45
	v_add_f32_e32 v78, v34, v28
	v_mul_f32_e32 v28, 0xbf4178ce, v24
	v_add_f32_e32 v46, v50, v46
	v_add_f32_e32 v41, v45, v41
	;; [unrolled: 1-line block ×3, first 2 shown]
	v_fma_f32 v29, v25, s11, -v28
	v_fmac_f32_e32 v28, 0xbf27a4f4, v25
	v_add_f32_e32 v42, v46, v42
	v_add_f32_e32 v37, v41, v37
	;; [unrolled: 1-line block ×3, first 2 shown]
	v_mul_f32_e32 v28, 0x3f68dda4, v24
	v_add_f32_e32 v38, v42, v38
	v_add_f32_e32 v79, v37, v29
	v_fma_f32 v29, v25, s6, -v28
	v_fmac_f32_e32 v28, 0x3ed4b147, v25
	v_mul_f32_e32 v24, 0xbf7d64f0, v24
	v_add_f32_e32 v48, v52, v48
	v_add_f32_e32 v82, v38, v28
	v_fma_f32 v28, v25, s7, -v24
	v_fmac_f32_e32 v24, 0xbe11bafb, v25
	s_movk_i32 s4, 0xffd8
	v_add_f32_e32 v43, v47, v43
	v_add_f32_e32 v44, v48, v44
	;; [unrolled: 1-line block ×3, first 2 shown]
	v_mad_i32_i24 v1, v0, s4, v12
	v_add_f32_e32 v39, v43, v39
	v_add_f32_e32 v40, v44, v40
	v_add_u32_e32 v54, 0x200, v1
	v_add_u32_e32 v50, 0x800, v1
	;; [unrolled: 1-line block ×5, first 2 shown]
	v_add_f32_e32 v81, v39, v29
	v_add_f32_e32 v83, v40, v28
	s_waitcnt lgkmcnt(0)
	; wave barrier
	s_waitcnt lgkmcnt(0)
	ds_read2_b32 v[28:29], v1 offset1:55
	ds_read2_b32 v[24:25], v54 offset0:92 offset1:147
	ds_read2_b32 v[48:49], v50 offset0:38 offset1:93
	;; [unrolled: 1-line block ×10, first 2 shown]
	v_add_u32_e32 v58, 0xe00, v1
	ds_read2_b32 v[34:35], v58 offset0:94 offset1:149
	ds_read_b32 v59, v1 offset:5280
	v_add_u32_e32 v52, 0x6e, v0
	s_waitcnt lgkmcnt(0)
	; wave barrier
	s_waitcnt lgkmcnt(0)
	ds_write2_b32 v12, v75, v53 offset1:1
	ds_write2_b32 v12, v63, v65 offset0:2 offset1:3
	ds_write2_b32 v12, v60, v61 offset0:4 offset1:5
	;; [unrolled: 1-line block ×4, first 2 shown]
	ds_write_b32 v12, v62 offset:40
	ds_write2_b32 v70, v69, v51 offset1:1
	ds_write2_b32 v71, v77, v79 offset1:1
	;; [unrolled: 1-line block ×5, first 2 shown]
	ds_write_b32 v12, v76 offset:2460
	s_and_saveexec_b64 s[4:5], vcc
	s_cbranch_execz .LBB0_17
; %bb.16:
	v_add_f32_e32 v12, v13, v21
	v_add_f32_e32 v12, v12, v17
	;; [unrolled: 1-line block ×8, first 2 shown]
	v_sub_f32_e32 v20, v20, v26
	v_add_f32_e32 v12, v23, v12
	v_add_f32_e32 v21, v21, v27
	v_mul_f32_e32 v26, 0xbf0a6770, v20
	s_mov_b32 s6, 0x3f575c64
	v_mul_f32_e32 v51, 0xbf68dda4, v20
	s_mov_b32 s7, 0x3ed4b147
	;; [unrolled: 2-line block ×3, first 2 shown]
	v_mul_f32_e32 v62, 0xbf4178ce, v20
	v_mul_f32_e32 v20, 0xbe903f40, v20
	v_add_f32_e32 v12, v27, v12
	v_fma_f32 v27, v21, s6, -v26
	v_fmac_f32_e32 v26, 0x3f575c64, v21
	v_fma_f32 v53, v21, s7, -v51
	v_fmac_f32_e32 v51, 0x3ed4b147, v21
	;; [unrolled: 2-line block ×5, first 2 shown]
	v_sub_f32_e32 v16, v16, v22
	v_add_f32_e32 v27, v13, v27
	v_add_f32_e32 v26, v13, v26
	;; [unrolled: 1-line block ×11, first 2 shown]
	v_mul_f32_e32 v20, 0xbf68dda4, v16
	v_fma_f32 v21, v17, s7, -v20
	v_fmac_f32_e32 v20, 0x3ed4b147, v17
	v_mul_f32_e32 v22, 0xbf4178ce, v16
	v_add_f32_e32 v20, v26, v20
	v_fma_f32 v23, v17, s11, -v22
	v_fmac_f32_e32 v22, 0xbf27a4f4, v17
	v_mul_f32_e32 v26, 0x3e903f40, v16
	v_add_f32_e32 v21, v27, v21
	v_add_f32_e32 v22, v51, v22
	v_fma_f32 v27, v17, s12, -v26
	v_fmac_f32_e32 v26, 0xbf75a155, v17
	v_mul_f32_e32 v51, 0x3f7d64f0, v16
	v_mul_f32_e32 v16, 0x3f0a6770, v16
	v_add_f32_e32 v26, v60, v26
	v_fma_f32 v60, v17, s6, -v16
	v_fmac_f32_e32 v16, 0x3f575c64, v17
	v_sub_f32_e32 v14, v14, v18
	v_add_f32_e32 v13, v13, v16
	v_add_f32_e32 v15, v15, v19
	v_mul_f32_e32 v16, 0xbf7d64f0, v14
	v_add_f32_e32 v23, v53, v23
	v_fma_f32 v53, v17, s10, -v51
	v_fmac_f32_e32 v51, 0xbe11bafb, v17
	v_fma_f32 v17, v15, s10, -v16
	v_fmac_f32_e32 v16, 0xbe11bafb, v15
	v_mul_f32_e32 v18, 0x3e903f40, v14
	v_add_f32_e32 v16, v20, v16
	v_fma_f32 v19, v15, s12, -v18
	v_fmac_f32_e32 v18, 0xbf75a155, v15
	v_mul_f32_e32 v20, 0x3f68dda4, v14
	v_add_f32_e32 v17, v21, v17
	v_add_f32_e32 v18, v22, v18
	v_fma_f32 v21, v15, s7, -v20
	v_fmac_f32_e32 v20, 0x3ed4b147, v15
	v_mul_f32_e32 v22, 0xbf0a6770, v14
	v_mul_f32_e32 v14, 0xbf4178ce, v14
	v_sub_f32_e32 v8, v8, v10
	v_add_f32_e32 v20, v26, v20
	v_fma_f32 v26, v15, s11, -v14
	v_fmac_f32_e32 v14, 0xbf27a4f4, v15
	v_add_f32_e32 v9, v9, v11
	v_mul_f32_e32 v10, 0xbf4178ce, v8
	v_add_f32_e32 v13, v13, v14
	v_fma_f32 v11, v9, s11, -v10
	v_fmac_f32_e32 v10, 0xbf27a4f4, v9
	v_mul_f32_e32 v14, 0x3f7d64f0, v8
	v_add_f32_e32 v19, v23, v19
	v_fma_f32 v23, v15, s6, -v22
	v_fmac_f32_e32 v22, 0x3f575c64, v15
	v_add_f32_e32 v10, v16, v10
	v_fma_f32 v15, v9, s10, -v14
	v_fmac_f32_e32 v14, 0xbe11bafb, v9
	v_mul_f32_e32 v16, 0xbf0a6770, v8
	v_sub_f32_e32 v4, v4, v6
	v_add_f32_e32 v11, v17, v11
	v_add_f32_e32 v14, v18, v14
	v_fma_f32 v17, v9, s6, -v16
	v_fmac_f32_e32 v16, 0x3f575c64, v9
	v_mul_f32_e32 v18, 0xbe903f40, v8
	v_mul_f32_e32 v8, 0x3f68dda4, v8
	v_add_f32_e32 v5, v5, v7
	v_mul_f32_e32 v6, 0xbe903f40, v4
	v_add_f32_e32 v15, v19, v15
	v_add_f32_e32 v16, v20, v16
	v_fma_f32 v19, v9, s12, -v18
	v_fmac_f32_e32 v18, 0xbf75a155, v9
	v_fma_f32 v20, v9, s7, -v8
	v_fmac_f32_e32 v8, 0x3ed4b147, v9
	;; [unrolled: 2-line block ×3, first 2 shown]
	v_mul_f32_e32 v9, 0x3f0a6770, v4
	v_add_f32_e32 v27, v61, v27
	v_add_f32_e32 v53, v63, v53
	;; [unrolled: 1-line block ×6, first 2 shown]
	v_fma_f32 v10, v5, s6, -v9
	v_fmac_f32_e32 v9, 0x3f575c64, v5
	v_mul_f32_e32 v11, 0xbf4178ce, v4
	v_add_f32_e32 v21, v27, v21
	v_add_f32_e32 v23, v53, v23
	;; [unrolled: 1-line block ×6, first 2 shown]
	v_fma_f32 v13, v5, s11, -v11
	v_fmac_f32_e32 v11, 0xbf27a4f4, v5
	v_mul_f32_e32 v14, 0x3f68dda4, v4
	v_mul_f32_e32 v4, 0xbf7d64f0, v4
	v_add_f32_e32 v17, v21, v17
	v_add_f32_e32 v19, v23, v19
	;; [unrolled: 1-line block ×6, first 2 shown]
	v_fma_f32 v15, v5, s7, -v14
	v_fmac_f32_e32 v14, 0x3ed4b147, v5
	v_fma_f32 v16, v5, s10, -v4
	v_fmac_f32_e32 v4, 0xbe11bafb, v5
	v_mad_u32_u24 v5, v52, 44, 0
	v_add_f32_e32 v13, v17, v13
	v_add_f32_e32 v15, v19, v15
	;; [unrolled: 1-line block ×5, first 2 shown]
	ds_write2_b32 v5, v12, v7 offset1:1
	ds_write2_b32 v5, v10, v13 offset0:2 offset1:3
	ds_write2_b32 v5, v15, v16 offset0:4 offset1:5
	;; [unrolled: 1-line block ×4, first 2 shown]
	ds_write_b32 v5, v6 offset:40
.LBB0_17:
	s_or_b64 exec, exec, s[4:5]
	s_movk_i32 s4, 0x75
	v_mul_lo_u16_sdwa v4, v0, s4 dst_sel:DWORD dst_unused:UNUSED_PAD src0_sel:BYTE_0 src1_sel:DWORD
	v_sub_u16_sdwa v5, v0, v4 dst_sel:DWORD dst_unused:UNUSED_PAD src0_sel:DWORD src1_sel:BYTE_1
	v_lshrrev_b16_e32 v5, 1, v5
	v_and_b32_e32 v5, 0x7f, v5
	v_add_u16_sdwa v4, v5, v4 dst_sel:DWORD dst_unused:UNUSED_PAD src0_sel:DWORD src1_sel:BYTE_1
	v_lshrrev_b16_e32 v8, 3, v4
	v_mul_lo_u16_e32 v4, 11, v8
	v_sub_u16_e32 v23, v0, v4
	v_mov_b32_e32 v4, 5
	v_add_u32_e32 v53, 55, v0
	v_lshlrev_b32_sdwa v5, v4, v23 dst_sel:DWORD dst_unused:UNUSED_PAD src0_sel:DWORD src1_sel:BYTE_0
	s_waitcnt lgkmcnt(0)
	; wave barrier
	s_waitcnt lgkmcnt(0)
	global_load_dwordx4 v[15:18], v5, s[8:9] offset:16
	global_load_dwordx4 v[19:22], v5, s[8:9]
	v_mul_lo_u16_sdwa v5, v53, s4 dst_sel:DWORD dst_unused:UNUSED_PAD src0_sel:BYTE_0 src1_sel:DWORD
	v_sub_u16_sdwa v6, v53, v5 dst_sel:DWORD dst_unused:UNUSED_PAD src0_sel:DWORD src1_sel:BYTE_1
	v_lshrrev_b16_e32 v6, 1, v6
	v_and_b32_e32 v6, 0x7f, v6
	v_add_u16_sdwa v5, v6, v5 dst_sel:DWORD dst_unused:UNUSED_PAD src0_sel:DWORD src1_sel:BYTE_1
	v_lshrrev_b16_e32 v9, 3, v5
	v_mul_lo_u16_e32 v5, 11, v9
	v_sub_u16_e32 v27, v53, v5
	v_lshlrev_b32_sdwa v5, v4, v27 dst_sel:DWORD dst_unused:UNUSED_PAD src0_sel:DWORD src1_sel:BYTE_0
	global_load_dwordx4 v[60:63], v5, s[8:9]
	global_load_dwordx4 v[64:67], v5, s[8:9] offset:16
	v_mul_lo_u16_sdwa v5, v52, s4 dst_sel:DWORD dst_unused:UNUSED_PAD src0_sel:BYTE_0 src1_sel:DWORD
	v_sub_u16_sdwa v6, v52, v5 dst_sel:DWORD dst_unused:UNUSED_PAD src0_sel:DWORD src1_sel:BYTE_1
	v_lshrrev_b16_e32 v6, 1, v6
	v_and_b32_e32 v6, 0x7f, v6
	v_add_u16_sdwa v5, v6, v5 dst_sel:DWORD dst_unused:UNUSED_PAD src0_sel:DWORD src1_sel:BYTE_1
	v_lshrrev_b16_e32 v10, 3, v5
	v_mul_lo_u16_e32 v5, 11, v10
	v_sub_u16_e32 v110, v52, v5
	v_lshlrev_b32_sdwa v5, v4, v110 dst_sel:DWORD dst_unused:UNUSED_PAD src0_sel:DWORD src1_sel:BYTE_0
	global_load_dwordx4 v[68:71], v5, s[8:9]
	global_load_dwordx4 v[72:75], v5, s[8:9] offset:16
	v_add_u32_e32 v26, 0xa5, v0
	v_mul_lo_u16_sdwa v5, v26, s4 dst_sel:DWORD dst_unused:UNUSED_PAD src0_sel:BYTE_0 src1_sel:DWORD
	v_sub_u16_sdwa v6, v26, v5 dst_sel:DWORD dst_unused:UNUSED_PAD src0_sel:DWORD src1_sel:BYTE_1
	v_lshrrev_b16_e32 v6, 1, v6
	v_and_b32_e32 v6, 0x7f, v6
	v_add_u16_sdwa v5, v6, v5 dst_sel:DWORD dst_unused:UNUSED_PAD src0_sel:DWORD src1_sel:BYTE_1
	v_add_u32_e32 v51, 0xdc, v0
	s_mov_b32 s4, 0xba2f
	v_lshrrev_b16_e32 v11, 3, v5
	v_mul_u32_u24_sdwa v12, v51, s4 dst_sel:DWORD dst_unused:UNUSED_PAD src0_sel:WORD_0 src1_sel:DWORD
	v_mul_lo_u16_e32 v5, 11, v11
	v_lshrrev_b32_e32 v12, 19, v12
	v_sub_u16_e32 v111, v26, v5
	v_mul_lo_u16_e32 v13, 11, v12
	v_lshlrev_b32_sdwa v4, v4, v111 dst_sel:DWORD dst_unused:UNUSED_PAD src0_sel:DWORD src1_sel:BYTE_0
	v_sub_u16_e32 v112, v51, v13
	global_load_dwordx4 v[76:79], v4, s[8:9]
	global_load_dwordx4 v[80:83], v4, s[8:9] offset:16
	v_lshlrev_b32_e32 v13, 5, v112
	ds_read2_b32 v[6:7], v1 offset1:55
	ds_read2_b32 v[4:5], v54 offset0:92 offset1:147
	ds_read2_b32 v[92:93], v50 offset0:38 offset1:93
	;; [unrolled: 1-line block ×3, first 2 shown]
	global_load_dwordx4 v[84:87], v13, s[8:9] offset:16
	global_load_dwordx4 v[88:91], v13, s[8:9]
	ds_read2_b32 v[96:97], v56 offset0:76 offset1:131
	ds_read2_b32 v[98:99], v55 offset0:74 offset1:129
	;; [unrolled: 1-line block ×8, first 2 shown]
	ds_read_b32 v113, v1 offset:5280
	v_mov_b32_e32 v114, 2
	v_lshlrev_b32_sdwa v23, v114, v23 dst_sel:DWORD dst_unused:UNUSED_PAD src0_sel:DWORD src1_sel:BYTE_0
	v_mul_u32_u24_e32 v8, 0xdc, v8
	v_lshlrev_b32_sdwa v27, v114, v27 dst_sel:DWORD dst_unused:UNUSED_PAD src0_sel:DWORD src1_sel:BYTE_0
	v_add3_u32 v23, 0, v8, v23
	v_mul_u32_u24_e32 v8, 0xdc, v9
	v_add3_u32 v27, 0, v8, v27
	v_mul_u32_u24_e32 v8, 0xdc, v11
	s_waitcnt lgkmcnt(0)
	; wave barrier
	s_waitcnt lgkmcnt(0)
	s_movk_i32 s4, 0x95
	s_waitcnt vmcnt(9)
	v_mul_f32_e32 v118, v96, v18
	s_waitcnt vmcnt(8)
	v_mul_f32_e32 v115, v5, v20
	v_mul_f32_e32 v116, v92, v22
	;; [unrolled: 1-line block ×4, first 2 shown]
	v_fmac_f32_e32 v118, v46, v17
	v_mul_f32_e32 v20, v25, v20
	v_fmac_f32_e32 v115, v25, v19
	v_fmac_f32_e32 v116, v48, v21
	;; [unrolled: 1-line block ×3, first 2 shown]
	v_mul_f32_e32 v16, v33, v16
	s_waitcnt vmcnt(6)
	v_mul_f32_e32 v25, v97, v67
	v_fmac_f32_e32 v25, v47, v66
	v_mul_f32_e32 v33, v47, v67
	v_mul_f32_e32 v22, v48, v22
	v_fma_f32 v5, v5, v19, -v20
	v_fma_f32 v15, v95, v15, -v16
	;; [unrolled: 1-line block ×4, first 2 shown]
	v_mul_f32_e32 v119, v98, v61
	s_waitcnt vmcnt(5)
	v_mul_f32_e32 v46, v102, v71
	v_fmac_f32_e32 v46, v40, v70
	v_mul_f32_e32 v40, v40, v71
	v_fma_f32 v40, v102, v70, -v40
	s_waitcnt vmcnt(4)
	v_mul_f32_e32 v47, v101, v73
	v_add_f32_e32 v70, v116, v117
	v_fmac_f32_e32 v47, v43, v72
	v_mul_f32_e32 v43, v43, v73
	v_mul_f32_e32 v48, v104, v75
	v_fma_f32 v70, -0.5, v70, v28
	v_fma_f32 v43, v101, v72, -v43
	v_fmac_f32_e32 v48, v38, v74
	v_mul_f32_e32 v38, v38, v75
	v_sub_f32_e32 v71, v5, v16
	v_mov_b32_e32 v72, v70
	v_fma_f32 v38, v104, v74, -v38
	v_fmac_f32_e32 v72, 0xbf737871, v71
	v_sub_f32_e32 v73, v19, v15
	v_sub_f32_e32 v74, v115, v116
	;; [unrolled: 1-line block ×3, first 2 shown]
	v_fmac_f32_e32 v70, 0x3f737871, v71
	v_fmac_f32_e32 v72, 0xbf167918, v73
	v_add_f32_e32 v74, v74, v75
	v_fmac_f32_e32 v70, 0x3f167918, v73
	v_fmac_f32_e32 v119, v44, v60
	v_mul_f32_e32 v17, v44, v61
	v_mul_f32_e32 v44, v99, v69
	v_fmac_f32_e32 v72, 0x3e9e377a, v74
	v_fmac_f32_e32 v70, 0x3e9e377a, v74
	v_add_f32_e32 v74, v115, v118
	v_fmac_f32_e32 v44, v45, v68
	v_mul_f32_e32 v45, v45, v69
	v_add_f32_e32 v69, v28, v115
	v_fma_f32 v28, -0.5, v74, v28
	v_mov_b32_e32 v74, v28
	v_fmac_f32_e32 v74, 0x3f737871, v73
	v_fmac_f32_e32 v28, 0xbf737871, v73
	;; [unrolled: 1-line block ×4, first 2 shown]
	v_add_f32_e32 v71, v6, v5
	v_add_f32_e32 v71, v71, v19
	v_fma_f32 v17, v98, v60, -v17
	v_mul_f32_e32 v18, v93, v63
	v_mul_f32_e32 v20, v49, v63
	s_waitcnt vmcnt(3)
	v_mul_f32_e32 v60, v106, v77
	s_waitcnt vmcnt(2)
	;; [unrolled: 2-line block ×3, first 2 shown]
	v_mul_f32_e32 v67, v109, v85
	v_add_f32_e32 v71, v71, v15
	v_fmac_f32_e32 v60, v36, v76
	v_mul_f32_e32 v36, v36, v77
	v_fmac_f32_e32 v63, v39, v82
	v_mul_f32_e32 v39, v39, v83
	;; [unrolled: 2-line block ×3, first 2 shown]
	v_add_f32_e32 v83, v71, v16
	v_add_f32_e32 v71, v19, v15
	v_fma_f32 v36, v106, v76, -v36
	v_fma_f32 v35, v109, v84, -v35
	v_sub_f32_e32 v75, v116, v115
	v_sub_f32_e32 v76, v117, v118
	v_fma_f32 v84, -0.5, v71, v6
	v_add_f32_e32 v75, v75, v76
	v_sub_f32_e32 v71, v115, v118
	v_mov_b32_e32 v85, v84
	v_fmac_f32_e32 v74, 0x3e9e377a, v75
	v_fmac_f32_e32 v28, 0x3e9e377a, v75
	;; [unrolled: 1-line block ×3, first 2 shown]
	v_sub_f32_e32 v73, v116, v117
	v_sub_f32_e32 v75, v5, v19
	;; [unrolled: 1-line block ×3, first 2 shown]
	v_fmac_f32_e32 v84, 0xbf737871, v71
	v_mul_f32_e32 v21, v100, v65
	v_fmac_f32_e32 v85, 0x3f167918, v73
	v_add_f32_e32 v75, v75, v76
	v_fmac_f32_e32 v84, 0xbf167918, v73
	v_fmac_f32_e32 v18, v49, v62
	;; [unrolled: 1-line block ×3, first 2 shown]
	v_fma_f32 v45, v99, v68, -v45
	v_mul_f32_e32 v68, v113, v87
	v_fmac_f32_e32 v85, 0x3e9e377a, v75
	v_fmac_f32_e32 v84, 0x3e9e377a, v75
	v_add_f32_e32 v75, v5, v16
	v_sub_f32_e32 v5, v19, v5
	v_sub_f32_e32 v15, v15, v16
	v_fmac_f32_e32 v68, v59, v86
	v_mul_f32_e32 v59, v59, v87
	v_fma_f32 v6, -0.5, v75, v6
	v_add_f32_e32 v5, v5, v15
	v_add_f32_e32 v15, v18, v21
	v_mul_f32_e32 v22, v42, v65
	v_fma_f32 v33, v97, v66, -v33
	v_fma_f32 v59, v113, v86, -v59
	v_mov_b32_e32 v86, v6
	v_fma_f32 v15, -0.5, v15, v29
	v_fma_f32 v20, v93, v62, -v20
	v_fma_f32 v22, v100, v64, -v22
	v_fmac_f32_e32 v86, 0xbf737871, v73
	v_fmac_f32_e32 v6, 0x3f737871, v73
	v_sub_f32_e32 v16, v17, v33
	v_mov_b32_e32 v19, v15
	v_fmac_f32_e32 v86, 0x3f167918, v71
	v_fmac_f32_e32 v6, 0xbf167918, v71
	;; [unrolled: 1-line block ×3, first 2 shown]
	v_sub_f32_e32 v71, v20, v22
	v_sub_f32_e32 v73, v119, v18
	;; [unrolled: 1-line block ×3, first 2 shown]
	v_fmac_f32_e32 v15, 0x3f737871, v16
	v_fmac_f32_e32 v19, 0xbf167918, v71
	v_add_f32_e32 v73, v73, v75
	v_fmac_f32_e32 v15, 0x3f167918, v71
	v_fmac_f32_e32 v19, 0x3e9e377a, v73
	;; [unrolled: 1-line block ×3, first 2 shown]
	v_add_f32_e32 v73, v119, v25
	v_fmac_f32_e32 v86, 0x3e9e377a, v5
	v_fmac_f32_e32 v6, 0x3e9e377a, v5
	v_add_f32_e32 v5, v29, v119
	v_fmac_f32_e32 v29, -0.5, v73
	v_mov_b32_e32 v73, v29
	v_fmac_f32_e32 v73, 0x3f737871, v71
	v_fmac_f32_e32 v29, 0xbf737871, v71
	;; [unrolled: 1-line block ×4, first 2 shown]
	v_add_f32_e32 v16, v7, v17
	v_add_f32_e32 v16, v16, v20
	s_waitcnt vmcnt(0)
	v_mul_f32_e32 v65, v107, v89
	v_add_f32_e32 v16, v16, v22
	v_fmac_f32_e32 v65, v37, v88
	v_mul_f32_e32 v37, v37, v89
	v_add_f32_e32 v87, v16, v33
	v_add_f32_e32 v16, v20, v22
	v_fma_f32 v37, v107, v88, -v37
	v_add_f32_e32 v5, v5, v18
	v_fma_f32 v88, -0.5, v16, v7
	v_add_f32_e32 v5, v5, v21
	v_sub_f32_e32 v16, v119, v25
	v_mov_b32_e32 v89, v88
	v_add_f32_e32 v5, v5, v25
	v_sub_f32_e32 v75, v18, v119
	v_sub_f32_e32 v76, v21, v25
	v_fmac_f32_e32 v89, 0x3f737871, v16
	v_sub_f32_e32 v18, v18, v21
	v_sub_f32_e32 v21, v17, v20
	;; [unrolled: 1-line block ×3, first 2 shown]
	v_fmac_f32_e32 v88, 0xbf737871, v16
	v_fmac_f32_e32 v89, 0x3f167918, v18
	v_add_f32_e32 v21, v21, v25
	v_fmac_f32_e32 v88, 0xbf167918, v18
	v_fmac_f32_e32 v89, 0x3e9e377a, v21
	;; [unrolled: 1-line block ×3, first 2 shown]
	v_add_f32_e32 v21, v17, v33
	v_fmac_f32_e32 v7, -0.5, v21
	v_mov_b32_e32 v21, v7
	v_fmac_f32_e32 v21, 0xbf737871, v18
	v_sub_f32_e32 v17, v20, v17
	v_sub_f32_e32 v20, v22, v33
	v_fmac_f32_e32 v7, 0x3f737871, v18
	v_fmac_f32_e32 v21, 0x3f167918, v16
	v_add_f32_e32 v17, v17, v20
	v_fmac_f32_e32 v7, 0xbf167918, v16
	v_fmac_f32_e32 v21, 0x3e9e377a, v17
	;; [unrolled: 1-line block ×3, first 2 shown]
	v_add_f32_e32 v17, v46, v47
	v_fma_f32 v17, -0.5, v17, v30
	v_sub_f32_e32 v18, v45, v38
	v_mov_b32_e32 v20, v17
	v_fmac_f32_e32 v20, 0xbf737871, v18
	v_sub_f32_e32 v22, v40, v43
	v_sub_f32_e32 v25, v44, v46
	v_sub_f32_e32 v33, v48, v47
	v_fmac_f32_e32 v17, 0x3f737871, v18
	v_fmac_f32_e32 v20, 0xbf167918, v22
	v_add_f32_e32 v25, v25, v33
	v_fmac_f32_e32 v17, 0x3f167918, v22
	v_fmac_f32_e32 v20, 0x3e9e377a, v25
	;; [unrolled: 1-line block ×3, first 2 shown]
	v_add_f32_e32 v25, v44, v48
	v_fma_f32 v25, -0.5, v25, v30
	v_add_f32_e32 v16, v30, v44
	v_mov_b32_e32 v30, v25
	v_fmac_f32_e32 v30, 0x3f737871, v22
	v_sub_f32_e32 v33, v46, v44
	v_sub_f32_e32 v71, v47, v48
	v_fmac_f32_e32 v25, 0xbf737871, v22
	v_add_f32_e32 v22, v40, v43
	v_add_f32_e32 v16, v16, v46
	v_fmac_f32_e32 v30, 0xbf167918, v18
	v_add_f32_e32 v33, v33, v71
	v_fmac_f32_e32 v25, 0x3f167918, v18
	v_fma_f32 v22, -0.5, v22, v13
	v_add_f32_e32 v16, v16, v47
	v_fmac_f32_e32 v30, 0x3e9e377a, v33
	v_fmac_f32_e32 v25, 0x3e9e377a, v33
	v_sub_f32_e32 v33, v44, v48
	v_mov_b32_e32 v44, v22
	v_add_f32_e32 v16, v16, v48
	v_fmac_f32_e32 v44, 0x3f737871, v33
	v_sub_f32_e32 v46, v46, v47
	v_sub_f32_e32 v47, v45, v40
	;; [unrolled: 1-line block ×3, first 2 shown]
	v_fmac_f32_e32 v22, 0xbf737871, v33
	v_mul_f32_e32 v66, v94, v91
	v_fmac_f32_e32 v44, 0x3f167918, v46
	v_add_f32_e32 v47, v47, v48
	v_fmac_f32_e32 v22, 0xbf167918, v46
	v_fmac_f32_e32 v66, v32, v90
	v_mul_f32_e32 v32, v32, v91
	v_fmac_f32_e32 v44, 0x3e9e377a, v47
	v_fmac_f32_e32 v22, 0x3e9e377a, v47
	v_add_f32_e32 v47, v45, v38
	v_fma_f32 v32, v94, v90, -v32
	v_fma_f32 v90, -0.5, v47, v13
	v_mul_f32_e32 v61, v103, v79
	v_mul_f32_e32 v62, v108, v81
	v_add_f32_e32 v18, v13, v45
	v_mov_b32_e32 v91, v90
	v_fmac_f32_e32 v61, v41, v78
	v_fmac_f32_e32 v62, v34, v80
	v_add_f32_e32 v18, v18, v40
	v_fmac_f32_e32 v91, 0xbf737871, v46
	v_fmac_f32_e32 v90, 0x3f737871, v46
	v_add_f32_e32 v18, v18, v43
	;; [unrolled: 3-line block ×3, first 2 shown]
	v_mul_f32_e32 v41, v41, v79
	v_mul_f32_e32 v34, v34, v81
	v_fma_f32 v39, v105, v82, -v39
	v_add_f32_e32 v18, v18, v38
	v_sub_f32_e32 v13, v40, v45
	v_sub_f32_e32 v38, v43, v38
	v_fma_f32 v33, -0.5, v33, v31
	v_fma_f32 v41, v103, v78, -v41
	v_fma_f32 v34, v108, v80, -v34
	v_add_f32_e32 v13, v13, v38
	v_sub_f32_e32 v38, v36, v39
	v_mov_b32_e32 v40, v33
	v_fmac_f32_e32 v40, 0xbf737871, v38
	v_sub_f32_e32 v43, v41, v34
	v_sub_f32_e32 v45, v60, v61
	;; [unrolled: 1-line block ×3, first 2 shown]
	v_fmac_f32_e32 v33, 0x3f737871, v38
	v_fmac_f32_e32 v40, 0xbf167918, v43
	v_add_f32_e32 v45, v45, v46
	v_fmac_f32_e32 v33, 0x3f167918, v43
	v_fmac_f32_e32 v40, 0x3e9e377a, v45
	;; [unrolled: 1-line block ×3, first 2 shown]
	v_add_f32_e32 v45, v60, v63
	v_fmac_f32_e32 v91, 0x3e9e377a, v13
	v_fmac_f32_e32 v90, 0x3e9e377a, v13
	v_add_f32_e32 v13, v31, v60
	v_fmac_f32_e32 v31, -0.5, v45
	v_mov_b32_e32 v45, v31
	v_fmac_f32_e32 v45, 0x3f737871, v43
	v_sub_f32_e32 v46, v61, v60
	v_sub_f32_e32 v47, v62, v63
	v_fmac_f32_e32 v31, 0xbf737871, v43
	v_add_f32_e32 v43, v41, v34
	v_fmac_f32_e32 v45, 0xbf167918, v38
	v_add_f32_e32 v46, v46, v47
	v_fmac_f32_e32 v31, 0x3f167918, v38
	v_fma_f32 v43, -0.5, v43, v14
	v_fmac_f32_e32 v45, 0x3e9e377a, v46
	v_fmac_f32_e32 v31, 0x3e9e377a, v46
	v_sub_f32_e32 v46, v60, v63
	v_mov_b32_e32 v60, v43
	v_add_f32_e32 v13, v13, v61
	v_add_f32_e32 v38, v14, v36
	v_fmac_f32_e32 v60, 0x3f737871, v46
	v_sub_f32_e32 v47, v61, v62
	v_sub_f32_e32 v48, v36, v41
	;; [unrolled: 1-line block ×3, first 2 shown]
	v_fmac_f32_e32 v43, 0xbf737871, v46
	v_add_f32_e32 v38, v38, v41
	v_fmac_f32_e32 v60, 0x3f167918, v47
	v_add_f32_e32 v48, v48, v61
	;; [unrolled: 2-line block ×3, first 2 shown]
	v_fmac_f32_e32 v60, 0x3e9e377a, v48
	v_fmac_f32_e32 v43, 0x3e9e377a, v48
	v_add_f32_e32 v48, v36, v39
	v_sub_f32_e32 v36, v41, v36
	v_sub_f32_e32 v34, v34, v39
	v_fmac_f32_e32 v14, -0.5, v48
	v_add_f32_e32 v34, v36, v34
	v_add_f32_e32 v36, v66, v67
	v_mov_b32_e32 v61, v14
	v_fma_f32 v36, -0.5, v36, v24
	v_add_f32_e32 v38, v38, v39
	v_fmac_f32_e32 v61, 0xbf737871, v47
	v_fmac_f32_e32 v14, 0x3f737871, v47
	v_sub_f32_e32 v39, v37, v59
	v_mov_b32_e32 v41, v36
	v_fmac_f32_e32 v61, 0x3f167918, v46
	v_fmac_f32_e32 v14, 0xbf167918, v46
	;; [unrolled: 1-line block ×3, first 2 shown]
	v_sub_f32_e32 v46, v32, v35
	v_sub_f32_e32 v47, v65, v66
	;; [unrolled: 1-line block ×3, first 2 shown]
	v_fmac_f32_e32 v36, 0x3f737871, v39
	v_fmac_f32_e32 v41, 0xbf167918, v46
	v_add_f32_e32 v47, v47, v48
	v_fmac_f32_e32 v36, 0x3f167918, v46
	v_fmac_f32_e32 v41, 0x3e9e377a, v47
	;; [unrolled: 1-line block ×3, first 2 shown]
	v_add_f32_e32 v47, v65, v68
	v_fmac_f32_e32 v61, 0x3e9e377a, v34
	v_fmac_f32_e32 v14, 0x3e9e377a, v34
	v_add_f32_e32 v34, v24, v65
	v_fmac_f32_e32 v24, -0.5, v47
	v_mov_b32_e32 v47, v24
	v_add_f32_e32 v13, v13, v62
	v_fmac_f32_e32 v47, 0x3f737871, v46
	v_sub_f32_e32 v48, v66, v65
	v_sub_f32_e32 v62, v67, v68
	v_fmac_f32_e32 v24, 0xbf737871, v46
	v_add_f32_e32 v46, v32, v35
	v_fmac_f32_e32 v47, 0xbf167918, v39
	v_add_f32_e32 v48, v48, v62
	v_fmac_f32_e32 v24, 0x3f167918, v39
	v_fma_f32 v46, -0.5, v46, v4
	v_fmac_f32_e32 v47, 0x3e9e377a, v48
	v_fmac_f32_e32 v24, 0x3e9e377a, v48
	v_sub_f32_e32 v48, v65, v68
	v_mov_b32_e32 v62, v46
	v_add_f32_e32 v13, v13, v63
	v_add_f32_e32 v34, v34, v66
	v_fmac_f32_e32 v62, 0x3f737871, v48
	v_sub_f32_e32 v63, v66, v67
	v_sub_f32_e32 v65, v37, v32
	;; [unrolled: 1-line block ×3, first 2 shown]
	v_fmac_f32_e32 v46, 0xbf737871, v48
	v_fmac_f32_e32 v62, 0x3f167918, v63
	v_add_f32_e32 v65, v65, v66
	v_fmac_f32_e32 v46, 0xbf167918, v63
	v_add_f32_e32 v69, v69, v116
	v_add_f32_e32 v39, v4, v37
	v_fmac_f32_e32 v62, 0x3e9e377a, v65
	v_fmac_f32_e32 v46, 0x3e9e377a, v65
	v_add_f32_e32 v65, v37, v59
	v_add_f32_e32 v69, v69, v117
	;; [unrolled: 1-line block ×3, first 2 shown]
	v_fmac_f32_e32 v4, -0.5, v65
	v_lshlrev_b32_sdwa v49, v114, v111 dst_sel:DWORD dst_unused:UNUSED_PAD src0_sel:DWORD src1_sel:BYTE_0
	v_add_f32_e32 v69, v69, v118
	v_add_f32_e32 v75, v75, v76
	v_add_f32_e32 v39, v39, v35
	v_mov_b32_e32 v65, v4
	v_sub_f32_e32 v32, v32, v37
	v_sub_f32_e32 v35, v35, v59
	v_fmac_f32_e32 v4, 0x3f737871, v63
	v_lshlrev_b32_sdwa v42, v114, v110 dst_sel:DWORD dst_unused:UNUSED_PAD src0_sel:DWORD src1_sel:BYTE_0
	v_lshlrev_b32_e32 v64, 2, v112
	v_fmac_f32_e32 v73, 0x3e9e377a, v75
	v_fmac_f32_e32 v29, 0x3e9e377a, v75
	v_add_f32_e32 v34, v34, v67
	v_fmac_f32_e32 v65, 0xbf737871, v63
	v_add_f32_e32 v32, v32, v35
	v_fmac_f32_e32 v4, 0xbf167918, v48
	ds_write2_b32 v23, v69, v72 offset1:11
	ds_write2_b32 v23, v74, v28 offset0:22 offset1:33
	ds_write_b32 v23, v70 offset:176
	ds_write2_b32 v27, v5, v19 offset1:11
	ds_write2_b32 v27, v73, v29 offset0:22 offset1:33
	ds_write_b32 v27, v15 offset:176
	v_mul_u32_u24_e32 v5, 0xdc, v10
	v_add3_u32 v15, 0, v8, v49
	v_mul_u32_u24_e32 v8, 0xdc, v12
	v_add_f32_e32 v34, v34, v68
	v_fmac_f32_e32 v65, 0x3f167918, v48
	v_fmac_f32_e32 v4, 0x3e9e377a, v32
	v_add3_u32 v5, 0, v5, v42
	v_add3_u32 v19, 0, v8, v64
	v_add_f32_e32 v39, v39, v59
	v_fmac_f32_e32 v65, 0x3e9e377a, v32
	ds_write2_b32 v5, v16, v20 offset1:11
	ds_write2_b32 v5, v30, v25 offset0:22 offset1:33
	ds_write_b32 v5, v17 offset:176
	ds_write2_b32 v15, v13, v40 offset1:11
	ds_write2_b32 v15, v45, v31 offset0:22 offset1:33
	ds_write_b32 v15, v33 offset:176
	;; [unrolled: 3-line block ×3, first 2 shown]
	s_waitcnt lgkmcnt(0)
	; wave barrier
	s_waitcnt lgkmcnt(0)
	ds_read2_b32 v[12:13], v1 offset1:55
	ds_read2_b32 v[8:9], v54 offset0:92 offset1:147
	ds_read2_b32 v[16:17], v50 offset0:38 offset1:93
	;; [unrolled: 1-line block ×11, first 2 shown]
	ds_read_b32 v49, v1 offset:5280
	s_waitcnt lgkmcnt(0)
	; wave barrier
	s_waitcnt lgkmcnt(0)
	ds_write2_b32 v23, v83, v85 offset1:11
	ds_write2_b32 v23, v86, v6 offset0:22 offset1:33
	ds_write_b32 v23, v84 offset:176
	ds_write2_b32 v27, v87, v89 offset1:11
	ds_write2_b32 v27, v21, v7 offset0:22 offset1:33
	ds_write_b32 v27, v88 offset:176
	;; [unrolled: 3-line block ×5, first 2 shown]
	v_lshlrev_b32_e32 v4, 2, v0
	v_mov_b32_e32 v5, 0
	v_lshlrev_b64 v[6:7], 3, v[4:5]
	v_mov_b32_e32 v4, s9
	v_add_co_u32_e32 v6, vcc, s8, v6
	v_addc_co_u32_e32 v7, vcc, v4, v7, vcc
	s_waitcnt lgkmcnt(0)
	; wave barrier
	s_waitcnt lgkmcnt(0)
	global_load_dwordx4 v[27:30], v[6:7], off offset:352
	global_load_dwordx4 v[31:34], v[6:7], off offset:368
	v_mul_lo_u16_sdwa v4, v52, s4 dst_sel:DWORD dst_unused:UNUSED_PAD src0_sel:BYTE_0 src1_sel:DWORD
	v_lshrrev_b16_e32 v4, 13, v4
	v_mul_lo_u16_e32 v4, 55, v4
	v_sub_u16_e32 v4, v52, v4
	v_and_b32_e32 v4, 0xff, v4
	v_lshlrev_b32_e32 v14, 5, v4
	global_load_dwordx4 v[35:38], v14, s[8:9] offset:352
	global_load_dwordx4 v[39:42], v14, s[8:9] offset:368
	v_mul_lo_u16_sdwa v14, v26, s4 dst_sel:DWORD dst_unused:UNUSED_PAD src0_sel:BYTE_0 src1_sel:DWORD
	v_lshrrev_b16_e32 v14, 13, v14
	v_mul_lo_u16_e32 v14, 55, v14
	v_sub_u16_e32 v14, v26, v14
	v_and_b32_e32 v14, 0xff, v14
	v_lshlrev_b32_e32 v15, 5, v14
	s_movk_i32 s4, 0x29e5
	global_load_dwordx4 v[43:46], v15, s[8:9] offset:352
	global_load_dwordx4 v[59:62], v15, s[8:9] offset:368
	v_mul_u32_u24_sdwa v15, v51, s4 dst_sel:DWORD dst_unused:UNUSED_PAD src0_sel:WORD_0 src1_sel:DWORD
	v_sub_u16_sdwa v18, v51, v15 dst_sel:DWORD dst_unused:UNUSED_PAD src0_sel:DWORD src1_sel:WORD_1
	v_lshrrev_b16_e32 v18, 1, v18
	v_add_u16_sdwa v15, v18, v15 dst_sel:DWORD dst_unused:UNUSED_PAD src0_sel:DWORD src1_sel:WORD_1
	v_lshrrev_b16_e32 v15, 5, v15
	v_mul_lo_u16_e32 v15, 55, v15
	v_sub_u16_e32 v15, v51, v15
	v_lshlrev_b32_e32 v18, 5, v15
	global_load_dwordx4 v[63:66], v18, s[8:9] offset:352
	global_load_dwordx4 v[67:70], v18, s[8:9] offset:368
	ds_read2_b32 v[20:21], v1 offset1:55
	ds_read2_b32 v[18:19], v54 offset0:92 offset1:147
	ds_read2_b32 v[83:84], v50 offset0:38 offset1:93
	;; [unrolled: 1-line block ×11, first 2 shown]
	ds_read_b32 v101, v1 offset:5280
	s_waitcnt lgkmcnt(0)
	; wave barrier
	s_waitcnt lgkmcnt(0)
	v_lshl_add_u32 v4, v4, 2, 0
	s_waitcnt vmcnt(7)
	v_mul_f32_e32 v102, v19, v28
	v_fmac_f32_e32 v102, v9, v27
	v_mul_f32_e32 v9, v9, v28
	v_fma_f32 v9, v19, v27, -v9
	v_mul_f32_e32 v19, v83, v30
	v_fmac_f32_e32 v19, v16, v29
	v_mul_f32_e32 v16, v16, v30
	v_fma_f32 v16, v83, v29, -v16
	s_waitcnt vmcnt(6)
	v_mul_f32_e32 v83, v86, v32
	v_fmac_f32_e32 v83, v25, v31
	v_mul_f32_e32 v25, v25, v32
	v_fma_f32 v25, v86, v31, -v25
	v_mul_f32_e32 v86, v87, v34
	v_fmac_f32_e32 v86, v47, v33
	v_mul_f32_e32 v47, v47, v34
	v_fma_f32 v47, v87, v33, -v47
	v_mul_f32_e32 v87, v89, v28
	v_mul_f32_e32 v28, v71, v28
	v_fmac_f32_e32 v87, v71, v27
	v_fma_f32 v27, v89, v27, -v28
	v_mul_f32_e32 v28, v84, v30
	v_fmac_f32_e32 v28, v17, v29
	v_mul_f32_e32 v17, v17, v30
	v_fma_f32 v17, v84, v29, -v17
	v_mul_f32_e32 v29, v91, v32
	v_mul_f32_e32 v30, v73, v32
	v_fmac_f32_e32 v29, v73, v31
	v_fma_f32 v30, v91, v31, -v30
	v_mul_f32_e32 v31, v88, v34
	v_mul_f32_e32 v32, v48, v34
	v_fmac_f32_e32 v31, v48, v33
	v_fma_f32 v32, v88, v33, -v32
	s_waitcnt vmcnt(5)
	v_mul_f32_e32 v33, v90, v36
	v_mul_f32_e32 v34, v72, v36
	v_fmac_f32_e32 v33, v72, v35
	v_fma_f32 v34, v90, v35, -v34
	v_mul_f32_e32 v35, v93, v38
	v_mul_f32_e32 v36, v75, v38
	v_fmac_f32_e32 v35, v75, v37
	v_fma_f32 v36, v93, v37, -v36
	s_waitcnt vmcnt(4)
	;; [unrolled: 9-line block ×5, first 2 shown]
	v_mul_f32_e32 v60, v98, v64
	v_mul_f32_e32 v61, v80, v64
	;; [unrolled: 1-line block ×3, first 2 shown]
	v_fmac_f32_e32 v60, v80, v63
	v_fma_f32 v61, v98, v63, -v61
	v_fmac_f32_e32 v62, v24, v65
	v_mul_f32_e32 v24, v24, v66
	s_waitcnt vmcnt(0)
	v_mul_f32_e32 v63, v100, v68
	v_mul_f32_e32 v64, v82, v68
	v_fma_f32 v24, v85, v65, -v24
	v_fmac_f32_e32 v63, v82, v67
	v_fma_f32 v64, v100, v67, -v64
	v_mul_f32_e32 v65, v101, v70
	v_add_f32_e32 v67, v19, v83
	v_fmac_f32_e32 v65, v49, v69
	v_mul_f32_e32 v49, v49, v70
	v_fma_f32 v67, -0.5, v67, v12
	v_fma_f32 v49, v101, v69, -v49
	v_sub_f32_e32 v68, v9, v47
	v_mov_b32_e32 v69, v67
	v_fmac_f32_e32 v69, 0xbf737871, v68
	v_sub_f32_e32 v70, v16, v25
	v_sub_f32_e32 v71, v102, v19
	;; [unrolled: 1-line block ×3, first 2 shown]
	v_fmac_f32_e32 v67, 0x3f737871, v68
	v_fmac_f32_e32 v69, 0xbf167918, v70
	v_add_f32_e32 v71, v71, v72
	v_fmac_f32_e32 v67, 0x3f167918, v70
	v_fmac_f32_e32 v69, 0x3e9e377a, v71
	;; [unrolled: 1-line block ×3, first 2 shown]
	v_add_f32_e32 v71, v102, v86
	v_add_f32_e32 v66, v12, v102
	v_fma_f32 v12, -0.5, v71, v12
	v_mov_b32_e32 v71, v12
	v_fmac_f32_e32 v71, 0x3f737871, v70
	v_sub_f32_e32 v72, v19, v102
	v_sub_f32_e32 v73, v83, v86
	v_fmac_f32_e32 v12, 0xbf737871, v70
	v_add_f32_e32 v70, v16, v25
	v_fmac_f32_e32 v71, 0xbf167918, v68
	v_add_f32_e32 v72, v72, v73
	v_fmac_f32_e32 v12, 0x3f167918, v68
	v_fma_f32 v70, -0.5, v70, v20
	v_fmac_f32_e32 v71, 0x3e9e377a, v72
	v_fmac_f32_e32 v12, 0x3e9e377a, v72
	v_sub_f32_e32 v72, v102, v86
	v_mov_b32_e32 v73, v70
	v_add_f32_e32 v66, v66, v19
	v_fmac_f32_e32 v73, 0x3f737871, v72
	v_sub_f32_e32 v19, v19, v83
	v_sub_f32_e32 v74, v9, v16
	;; [unrolled: 1-line block ×3, first 2 shown]
	v_fmac_f32_e32 v70, 0xbf737871, v72
	v_add_f32_e32 v68, v20, v9
	v_fmac_f32_e32 v73, 0x3f167918, v19
	v_add_f32_e32 v74, v74, v75
	;; [unrolled: 2-line block ×3, first 2 shown]
	v_fmac_f32_e32 v73, 0x3e9e377a, v74
	v_fmac_f32_e32 v70, 0x3e9e377a, v74
	v_add_f32_e32 v74, v9, v47
	v_sub_f32_e32 v9, v16, v9
	v_sub_f32_e32 v16, v25, v47
	v_fma_f32 v20, -0.5, v74, v20
	v_add_f32_e32 v9, v9, v16
	v_add_f32_e32 v16, v28, v29
	v_mov_b32_e32 v74, v20
	v_fma_f32 v16, -0.5, v16, v13
	v_add_f32_e32 v68, v68, v25
	v_fmac_f32_e32 v74, 0xbf737871, v19
	v_fmac_f32_e32 v20, 0x3f737871, v19
	v_sub_f32_e32 v19, v27, v32
	v_mov_b32_e32 v25, v16
	v_add_f32_e32 v68, v68, v47
	v_fmac_f32_e32 v74, 0x3f167918, v72
	v_fmac_f32_e32 v20, 0xbf167918, v72
	;; [unrolled: 1-line block ×3, first 2 shown]
	v_sub_f32_e32 v47, v17, v30
	v_sub_f32_e32 v72, v87, v28
	;; [unrolled: 1-line block ×3, first 2 shown]
	v_fmac_f32_e32 v16, 0x3f737871, v19
	v_fmac_f32_e32 v25, 0xbf167918, v47
	v_add_f32_e32 v72, v72, v75
	v_fmac_f32_e32 v16, 0x3f167918, v47
	v_fmac_f32_e32 v25, 0x3e9e377a, v72
	;; [unrolled: 1-line block ×3, first 2 shown]
	v_add_f32_e32 v72, v87, v31
	v_fmac_f32_e32 v74, 0x3e9e377a, v9
	v_fmac_f32_e32 v20, 0x3e9e377a, v9
	v_add_f32_e32 v9, v13, v87
	v_fmac_f32_e32 v13, -0.5, v72
	v_mov_b32_e32 v72, v13
	v_fmac_f32_e32 v72, 0x3f737871, v47
	v_fmac_f32_e32 v13, 0xbf737871, v47
	;; [unrolled: 1-line block ×4, first 2 shown]
	v_add_f32_e32 v19, v21, v27
	v_sub_f32_e32 v75, v28, v87
	v_sub_f32_e32 v76, v29, v31
	v_add_f32_e32 v19, v19, v17
	v_add_f32_e32 v75, v75, v76
	;; [unrolled: 1-line block ×3, first 2 shown]
	v_fmac_f32_e32 v72, 0x3e9e377a, v75
	v_fmac_f32_e32 v13, 0x3e9e377a, v75
	v_add_f32_e32 v75, v19, v32
	v_add_f32_e32 v19, v17, v30
	v_add_f32_e32 v9, v9, v28
	v_fma_f32 v76, -0.5, v19, v21
	v_add_f32_e32 v9, v9, v29
	v_sub_f32_e32 v19, v87, v31
	v_mov_b32_e32 v77, v76
	v_add_f32_e32 v9, v9, v31
	v_fmac_f32_e32 v77, 0x3f737871, v19
	v_sub_f32_e32 v28, v28, v29
	v_sub_f32_e32 v29, v27, v17
	;; [unrolled: 1-line block ×3, first 2 shown]
	v_fmac_f32_e32 v76, 0xbf737871, v19
	v_fmac_f32_e32 v77, 0x3f167918, v28
	v_add_f32_e32 v29, v29, v31
	v_fmac_f32_e32 v76, 0xbf167918, v28
	v_fmac_f32_e32 v77, 0x3e9e377a, v29
	;; [unrolled: 1-line block ×3, first 2 shown]
	v_add_f32_e32 v29, v27, v32
	v_fmac_f32_e32 v21, -0.5, v29
	v_mov_b32_e32 v78, v21
	v_fmac_f32_e32 v78, 0xbf737871, v28
	v_fmac_f32_e32 v21, 0x3f737871, v28
	;; [unrolled: 1-line block ×4, first 2 shown]
	v_add_f32_e32 v19, v35, v37
	v_sub_f32_e32 v17, v17, v27
	v_sub_f32_e32 v27, v30, v32
	v_fma_f32 v19, -0.5, v19, v10
	v_add_f32_e32 v17, v17, v27
	v_sub_f32_e32 v27, v34, v40
	v_mov_b32_e32 v28, v19
	v_fmac_f32_e32 v28, 0xbf737871, v27
	v_sub_f32_e32 v29, v36, v38
	v_sub_f32_e32 v30, v33, v35
	;; [unrolled: 1-line block ×3, first 2 shown]
	v_fmac_f32_e32 v19, 0x3f737871, v27
	v_fmac_f32_e32 v28, 0xbf167918, v29
	v_add_f32_e32 v30, v30, v31
	v_fmac_f32_e32 v19, 0x3f167918, v29
	v_fmac_f32_e32 v28, 0x3e9e377a, v30
	;; [unrolled: 1-line block ×3, first 2 shown]
	v_add_f32_e32 v30, v33, v39
	v_fmac_f32_e32 v78, 0x3e9e377a, v17
	v_fmac_f32_e32 v21, 0x3e9e377a, v17
	v_add_f32_e32 v17, v10, v33
	v_fma_f32 v10, -0.5, v30, v10
	v_mov_b32_e32 v30, v10
	v_fmac_f32_e32 v30, 0x3f737871, v29
	v_sub_f32_e32 v31, v35, v33
	v_sub_f32_e32 v32, v37, v39
	v_fmac_f32_e32 v10, 0xbf737871, v29
	v_add_f32_e32 v29, v36, v38
	v_add_f32_e32 v31, v31, v32
	v_fma_f32 v32, -0.5, v29, v22
	v_add_f32_e32 v17, v17, v35
	v_fmac_f32_e32 v30, 0xbf167918, v27
	v_fmac_f32_e32 v10, 0x3f167918, v27
	v_sub_f32_e32 v29, v33, v39
	v_mov_b32_e32 v33, v32
	v_add_f32_e32 v17, v17, v37
	v_fmac_f32_e32 v30, 0x3e9e377a, v31
	v_fmac_f32_e32 v10, 0x3e9e377a, v31
	v_fmac_f32_e32 v33, 0x3f737871, v29
	v_sub_f32_e32 v31, v35, v37
	v_sub_f32_e32 v35, v34, v36
	v_sub_f32_e32 v37, v40, v38
	v_fmac_f32_e32 v32, 0xbf737871, v29
	v_fmac_f32_e32 v33, 0x3f167918, v31
	v_add_f32_e32 v35, v35, v37
	v_fmac_f32_e32 v32, 0xbf167918, v31
	v_fmac_f32_e32 v33, 0x3e9e377a, v35
	;; [unrolled: 1-line block ×3, first 2 shown]
	v_add_f32_e32 v35, v34, v40
	v_add_f32_e32 v27, v22, v34
	v_fma_f32 v22, -0.5, v35, v22
	v_mov_b32_e32 v35, v22
	v_add_f32_e32 v27, v27, v36
	v_fmac_f32_e32 v35, 0xbf737871, v31
	v_sub_f32_e32 v34, v36, v34
	v_sub_f32_e32 v36, v38, v40
	v_fmac_f32_e32 v22, 0x3f737871, v31
	v_add_f32_e32 v31, v43, v45
	v_fmac_f32_e32 v35, 0x3f167918, v29
	v_add_f32_e32 v34, v34, v36
	v_fmac_f32_e32 v22, 0xbf167918, v29
	v_fma_f32 v31, -0.5, v31, v11
	v_fmac_f32_e32 v35, 0x3e9e377a, v34
	v_fmac_f32_e32 v22, 0x3e9e377a, v34
	v_sub_f32_e32 v34, v42, v59
	v_mov_b32_e32 v36, v31
	v_add_f32_e32 v17, v17, v39
	v_add_f32_e32 v27, v27, v38
	v_fmac_f32_e32 v36, 0xbf737871, v34
	v_sub_f32_e32 v37, v44, v46
	v_sub_f32_e32 v38, v41, v43
	;; [unrolled: 1-line block ×3, first 2 shown]
	v_fmac_f32_e32 v31, 0x3f737871, v34
	v_fmac_f32_e32 v36, 0xbf167918, v37
	v_add_f32_e32 v38, v38, v39
	v_fmac_f32_e32 v31, 0x3f167918, v37
	v_fmac_f32_e32 v36, 0x3e9e377a, v38
	;; [unrolled: 1-line block ×3, first 2 shown]
	v_add_f32_e32 v38, v41, v48
	v_add_f32_e32 v29, v11, v41
	v_fmac_f32_e32 v11, -0.5, v38
	v_mov_b32_e32 v38, v11
	v_add_f32_e32 v29, v29, v43
	v_fmac_f32_e32 v38, 0x3f737871, v37
	v_fmac_f32_e32 v11, 0xbf737871, v37
	v_add_f32_e32 v37, v44, v46
	v_add_f32_e32 v27, v27, v40
	;; [unrolled: 1-line block ×3, first 2 shown]
	v_sub_f32_e32 v39, v43, v41
	v_sub_f32_e32 v40, v45, v48
	v_fma_f32 v79, -0.5, v37, v23
	v_add_f32_e32 v29, v29, v48
	v_fmac_f32_e32 v38, 0xbf167918, v34
	v_add_f32_e32 v39, v39, v40
	v_fmac_f32_e32 v11, 0x3f167918, v34
	v_sub_f32_e32 v37, v41, v48
	v_mov_b32_e32 v48, v79
	v_fmac_f32_e32 v38, 0x3e9e377a, v39
	v_fmac_f32_e32 v11, 0x3e9e377a, v39
	v_fmac_f32_e32 v48, 0x3f737871, v37
	v_sub_f32_e32 v39, v43, v45
	v_sub_f32_e32 v40, v42, v44
	;; [unrolled: 1-line block ×3, first 2 shown]
	v_fmac_f32_e32 v79, 0xbf737871, v37
	v_fmac_f32_e32 v48, 0x3f167918, v39
	v_add_f32_e32 v40, v40, v41
	v_fmac_f32_e32 v79, 0xbf167918, v39
	v_fmac_f32_e32 v48, 0x3e9e377a, v40
	;; [unrolled: 1-line block ×3, first 2 shown]
	v_add_f32_e32 v40, v42, v59
	v_add_f32_e32 v34, v23, v42
	v_fmac_f32_e32 v23, -0.5, v40
	v_mov_b32_e32 v43, v23
	v_fmac_f32_e32 v43, 0xbf737871, v39
	v_sub_f32_e32 v40, v44, v42
	v_sub_f32_e32 v41, v46, v59
	v_fmac_f32_e32 v23, 0x3f737871, v39
	v_add_f32_e32 v39, v62, v63
	v_fmac_f32_e32 v43, 0x3f167918, v37
	v_add_f32_e32 v40, v40, v41
	v_fmac_f32_e32 v23, 0xbf167918, v37
	v_fma_f32 v39, -0.5, v39, v8
	v_fmac_f32_e32 v43, 0x3e9e377a, v40
	v_fmac_f32_e32 v23, 0x3e9e377a, v40
	v_sub_f32_e32 v40, v61, v49
	v_mov_b32_e32 v41, v39
	v_add_f32_e32 v34, v34, v44
	v_fmac_f32_e32 v41, 0xbf737871, v40
	v_sub_f32_e32 v42, v24, v64
	v_sub_f32_e32 v44, v60, v62
	;; [unrolled: 1-line block ×3, first 2 shown]
	v_fmac_f32_e32 v39, 0x3f737871, v40
	v_fmac_f32_e32 v41, 0xbf167918, v42
	v_add_f32_e32 v44, v44, v45
	v_fmac_f32_e32 v39, 0x3f167918, v42
	v_fmac_f32_e32 v41, 0x3e9e377a, v44
	v_fmac_f32_e32 v39, 0x3e9e377a, v44
	v_add_f32_e32 v44, v60, v65
	v_add_f32_e32 v37, v8, v60
	v_fmac_f32_e32 v8, -0.5, v44
	v_mov_b32_e32 v44, v8
	v_fmac_f32_e32 v44, 0x3f737871, v42
	v_fmac_f32_e32 v8, 0xbf737871, v42
	;; [unrolled: 1-line block ×4, first 2 shown]
	v_add_f32_e32 v40, v18, v61
	v_add_f32_e32 v40, v40, v24
	;; [unrolled: 1-line block ×3, first 2 shown]
	v_sub_f32_e32 v45, v62, v60
	v_sub_f32_e32 v46, v63, v65
	v_add_f32_e32 v40, v40, v64
	v_add_f32_e32 v45, v45, v46
	;; [unrolled: 1-line block ×4, first 2 shown]
	v_fmac_f32_e32 v44, 0x3e9e377a, v45
	v_fmac_f32_e32 v8, 0x3e9e377a, v45
	v_fma_f32 v45, -0.5, v40, v18
	v_add_f32_e32 v34, v34, v59
	v_sub_f32_e32 v40, v60, v65
	v_mov_b32_e32 v59, v45
	v_fmac_f32_e32 v59, 0x3f737871, v40
	v_sub_f32_e32 v46, v62, v63
	v_sub_f32_e32 v47, v61, v24
	;; [unrolled: 1-line block ×3, first 2 shown]
	v_fmac_f32_e32 v45, 0xbf737871, v40
	v_fmac_f32_e32 v59, 0x3f167918, v46
	v_add_f32_e32 v47, v47, v60
	v_fmac_f32_e32 v45, 0xbf167918, v46
	v_fmac_f32_e32 v59, 0x3e9e377a, v47
	;; [unrolled: 1-line block ×3, first 2 shown]
	v_add_f32_e32 v47, v61, v49
	v_fmac_f32_e32 v18, -0.5, v47
	v_add_f32_e32 v66, v66, v83
	v_mov_b32_e32 v60, v18
	v_add_f32_e32 v66, v66, v86
	v_add_f32_e32 v37, v37, v62
	v_fmac_f32_e32 v60, 0xbf737871, v46
	v_sub_f32_e32 v24, v24, v61
	v_sub_f32_e32 v47, v64, v49
	v_fmac_f32_e32 v18, 0x3f737871, v46
	v_add_f32_e32 v37, v37, v63
	v_fmac_f32_e32 v60, 0x3f167918, v40
	v_add_f32_e32 v24, v24, v47
	v_fmac_f32_e32 v18, 0xbf167918, v40
	ds_write2_b32 v1, v66, v69 offset1:55
	ds_write2_b32 v1, v71, v12 offset0:110 offset1:165
	ds_write2_b32 v54, v67, v9 offset0:92 offset1:147
	;; [unrolled: 1-line block ×4, first 2 shown]
	v_lshl_add_u32 v25, v14, 2, 0
	v_lshl_add_u32 v62, v15, 2, 0
	v_add_f32_e32 v37, v37, v65
	v_fmac_f32_e32 v60, 0x3e9e377a, v24
	v_fmac_f32_e32 v18, 0x3e9e377a, v24
	v_add_u32_e32 v24, 0x800, v4
	v_add_u32_e32 v61, 0xc00, v25
	;; [unrolled: 1-line block ×3, first 2 shown]
	ds_write2_b32 v24, v17, v28 offset0:38 offset1:93
	ds_write2_b32 v24, v30, v10 offset0:148 offset1:203
	ds_write_b32 v4, v19 offset:3080
	ds_write2_b32 v61, v29, v36 offset0:57 offset1:112
	ds_write2_b32 v61, v38, v11 offset0:167 offset1:222
	ds_write_b32 v25, v31 offset:4180
	;; [unrolled: 3-line block ×3, first 2 shown]
	s_waitcnt lgkmcnt(0)
	; wave barrier
	s_waitcnt lgkmcnt(0)
	ds_read2_b32 v[8:9], v1 offset1:55
	ds_read2_b32 v[14:15], v54 offset0:92 offset1:147
	ds_read2_b32 v[12:13], v50 offset0:38 offset1:93
	;; [unrolled: 1-line block ×11, first 2 shown]
	ds_read_b32 v19, v1 offset:5280
	s_waitcnt lgkmcnt(0)
	; wave barrier
	s_waitcnt lgkmcnt(0)
	ds_write2_b32 v1, v68, v73 offset1:55
	ds_write2_b32 v1, v74, v20 offset0:110 offset1:165
	ds_write2_b32 v54, v70, v75 offset0:92 offset1:147
	;; [unrolled: 1-line block ×6, first 2 shown]
	ds_write_b32 v4, v32 offset:3080
	ds_write2_b32 v61, v34, v48 offset0:57 offset1:112
	ds_write2_b32 v61, v43, v23 offset0:167 offset1:222
	ds_write_b32 v25, v79 offset:4180
	ds_write2_b32 v63, v42, v59 offset0:76 offset1:131
	ds_write2_b32 v63, v60, v18 offset0:186 offset1:241
	ds_write_b32 v62, v45 offset:5280
	s_waitcnt lgkmcnt(0)
	; wave barrier
	s_waitcnt lgkmcnt(0)
	s_and_saveexec_b64 s[4:5], s[0:1]
	s_cbranch_execz .LBB0_19
; %bb.18:
	v_lshlrev_b32_e32 v4, 2, v51
	v_lshlrev_b64 v[20:21], 3, v[4:5]
	v_mov_b32_e32 v77, s9
	v_add_co_u32_e32 v24, vcc, s8, v20
	v_addc_co_u32_e32 v25, vcc, v77, v21, vcc
	global_load_dwordx4 v[20:23], v[24:25], off offset:2112
	global_load_dwordx4 v[42:45], v[24:25], off offset:2128
	v_lshlrev_b32_e32 v4, 2, v26
	v_lshlrev_b64 v[24:25], 3, v[4:5]
	v_add_u32_e32 v78, 0x400, v1
	v_add_co_u32_e32 v24, vcc, s8, v24
	v_addc_co_u32_e32 v25, vcc, v77, v25, vcc
	ds_read_b32 v18, v1 offset:5280
	ds_read2_b32 v[70:71], v78 offset0:184 offset1:239
	global_load_dwordx4 v[54:57], v[24:25], off offset:2128
	global_load_dwordx4 v[58:61], v[24:25], off offset:2112
	v_add_u32_e32 v79, 0xc00, v1
	v_add_u32_e32 v34, 0x200, v1
	;; [unrolled: 1-line block ×3, first 2 shown]
	ds_read2_b32 v[32:33], v79 offset0:2 offset1:57
	ds_read2_b32 v[72:73], v27 offset0:94 offset1:149
	;; [unrolled: 1-line block ×3, first 2 shown]
	s_movk_i32 s0, 0x1000
	s_waitcnt vmcnt(3)
	v_mul_f32_e32 v4, v39, v21
	v_mul_f32_e32 v24, v10, v23
	s_waitcnt vmcnt(2)
	v_mul_f32_e32 v25, v19, v45
	v_mul_f32_e32 v26, v41, v43
	s_waitcnt lgkmcnt(2)
	v_mul_f32_e32 v62, v32, v23
	s_waitcnt lgkmcnt(1)
	v_mul_f32_e32 v43, v73, v43
	v_fma_f32 v4, v71, v20, -v4
	v_fma_f32 v27, v32, v22, -v24
	;; [unrolled: 1-line block ×4, first 2 shown]
	v_fmac_f32_e32 v62, v10, v22
	v_fmac_f32_e32 v43, v41, v42
	v_sub_f32_e32 v10, v4, v27
	v_sub_f32_e32 v42, v4, v32
	;; [unrolled: 1-line block ×3, first 2 shown]
	v_add_f32_e32 v64, v4, v32
	s_waitcnt lgkmcnt(0)
	v_add_f32_e32 v4, v4, v34
	v_mul_f32_e32 v48, v71, v21
	v_mul_f32_e32 v45, v18, v45
	v_add_f32_e32 v4, v27, v4
	v_fmac_f32_e32 v48, v39, v20
	v_fmac_f32_e32 v45, v19, v44
	v_add_f32_e32 v19, v27, v26
	v_add_f32_e32 v4, v26, v4
	v_sub_f32_e32 v44, v27, v26
	v_fma_f32 v25, -0.5, v19, v34
	v_add_f32_e32 v27, v32, v4
	v_add_f32_e32 v4, v14, v48
	v_sub_f32_e32 v39, v48, v45
	v_add_f32_e32 v22, v62, v43
	v_add_f32_e32 v67, v48, v45
	v_mov_b32_e32 v19, v25
	v_add_f32_e32 v4, v4, v62
	v_sub_f32_e32 v18, v32, v26
	v_sub_f32_e32 v41, v62, v43
	v_sub_f32_e32 v20, v48, v62
	v_sub_f32_e32 v21, v45, v43
	v_sub_f32_e32 v63, v26, v32
	v_fma_f32 v24, -0.5, v22, v14
	v_fma_f32 v22, -0.5, v67, v14
	v_fmac_f32_e32 v25, 0x3f737871, v39
	v_fmac_f32_e32 v19, 0xbf737871, v39
	v_add_f32_e32 v4, v4, v43
	v_add_f32_e32 v10, v10, v18
	;; [unrolled: 1-line block ×4, first 2 shown]
	v_fma_f32 v23, -0.5, v64, v34
	v_mov_b32_e32 v20, v22
	v_fmac_f32_e32 v25, 0x3f167918, v41
	v_fmac_f32_e32 v19, 0xbf167918, v41
	v_add_f32_e32 v26, v45, v4
	s_waitcnt vmcnt(0)
	v_mul_f32_e32 v4, v38, v59
	v_mov_b32_e32 v18, v24
	v_mov_b32_e32 v21, v23
	v_fmac_f32_e32 v22, 0x3f737871, v44
	v_fmac_f32_e32 v20, 0xbf737871, v44
	;; [unrolled: 1-line block ×4, first 2 shown]
	v_fma_f32 v10, v70, v58, -v4
	v_lshlrev_b32_e32 v4, 2, v52
	v_fmac_f32_e32 v23, 0xbf737871, v41
	v_fmac_f32_e32 v18, 0x3f737871, v42
	;; [unrolled: 1-line block ×6, first 2 shown]
	v_lshlrev_b64 v[41:42], 3, v[4:5]
	v_sub_f32_e32 v65, v62, v48
	v_add_co_u32_e32 v41, vcc, s8, v41
	v_sub_f32_e32 v66, v43, v45
	v_fmac_f32_e32 v23, 0x3f167918, v39
	v_fmac_f32_e32 v18, 0x3f167918, v44
	;; [unrolled: 1-line block ×4, first 2 shown]
	v_add_u32_e32 v14, 0x800, v1
	v_addc_co_u32_e32 v42, vcc, v77, v42, vcc
	v_add_f32_e32 v34, v65, v66
	v_fmac_f32_e32 v23, 0x3e9e377a, v63
	v_fmac_f32_e32 v18, 0x3e9e377a, v68
	;; [unrolled: 1-line block ×4, first 2 shown]
	ds_read2_b32 v[73:74], v14 offset0:148 offset1:203
	global_load_dwordx4 v[62:65], v[41:42], off offset:2128
	global_load_dwordx4 v[66:69], v[41:42], off offset:2112
	v_fmac_f32_e32 v22, 0x3e9e377a, v34
	v_fmac_f32_e32 v20, 0x3e9e377a, v34
	v_mul_f32_e32 v4, v47, v61
	v_add_u32_e32 v34, 0x1000, v1
	s_waitcnt lgkmcnt(0)
	v_mul_f32_e32 v44, v74, v61
	ds_read2_b32 v[75:76], v34 offset0:186 offset1:241
	v_fma_f32 v4, v74, v60, -v4
	v_fmac_f32_e32 v44, v47, v60
	ds_read2_b32 v[60:61], v1 offset0:110 offset1:165
	v_mul_f32_e32 v39, v50, v57
	s_waitcnt lgkmcnt(1)
	v_fma_f32 v42, v76, v56, -v39
	v_mul_f32_e32 v39, v40, v55
	v_fma_f32 v43, v72, v54, -v39
	s_waitcnt lgkmcnt(0)
	v_add_f32_e32 v45, v10, v61
	v_mul_f32_e32 v52, v72, v55
	v_mul_f32_e32 v55, v70, v59
	v_add_f32_e32 v45, v4, v45
	v_fmac_f32_e32 v55, v38, v58
	v_add_f32_e32 v45, v43, v45
	v_add_f32_e32 v48, v42, v45
	;; [unrolled: 1-line block ×3, first 2 shown]
	v_fmac_f32_e32 v52, v40, v54
	v_mul_f32_e32 v57, v76, v57
	v_add_f32_e32 v45, v45, v44
	v_sub_f32_e32 v32, v10, v4
	v_fmac_f32_e32 v57, v50, v56
	v_add_f32_e32 v38, v4, v43
	v_sub_f32_e32 v58, v10, v42
	v_sub_f32_e32 v59, v4, v43
	v_add_f32_e32 v45, v45, v52
	v_sub_f32_e32 v4, v4, v10
	v_add_f32_e32 v10, v10, v42
	v_sub_f32_e32 v39, v42, v43
	v_add_f32_e32 v47, v57, v45
	v_sub_f32_e32 v43, v43, v42
	v_fma_f32 v45, -0.5, v10, v61
	v_sub_f32_e32 v54, v44, v52
	v_add_f32_e32 v4, v4, v43
	v_mov_b32_e32 v43, v45
	v_sub_f32_e32 v50, v55, v57
	v_fmac_f32_e32 v43, 0x3f737871, v54
	v_fmac_f32_e32 v45, 0xbf737871, v54
	;; [unrolled: 1-line block ×6, first 2 shown]
	v_sub_f32_e32 v4, v44, v55
	v_sub_f32_e32 v10, v52, v57
	v_add_f32_e32 v32, v32, v39
	v_fma_f32 v39, -0.5, v38, v61
	v_sub_f32_e32 v38, v55, v44
	v_sub_f32_e32 v40, v57, v52
	v_add_f32_e32 v4, v4, v10
	v_add_f32_e32 v10, v55, v57
	;; [unrolled: 1-line block ×4, first 2 shown]
	v_fma_f32 v44, -0.5, v10, v37
	v_mov_b32_e32 v42, v44
	v_fmac_f32_e32 v42, 0xbf737871, v59
	v_fmac_f32_e32 v44, 0x3f737871, v59
	;; [unrolled: 1-line block ×6, first 2 shown]
	v_lshlrev_b32_e32 v4, 2, v53
	v_fma_f32 v38, -0.5, v38, v37
	v_lshlrev_b64 v[52:53], 3, v[4:5]
	v_mov_b32_e32 v40, v38
	v_mov_b32_e32 v41, v39
	v_fmac_f32_e32 v40, 0xbf737871, v58
	v_fmac_f32_e32 v38, 0x3f737871, v58
	v_add_co_u32_e32 v76, vcc, s8, v52
	v_fmac_f32_e32 v41, 0x3f737871, v50
	v_fmac_f32_e32 v40, 0xbf167918, v59
	;; [unrolled: 1-line block ×4, first 2 shown]
	v_addc_co_u32_e32 v77, vcc, v77, v53, vcc
	v_fmac_f32_e32 v41, 0x3f167918, v54
	v_fmac_f32_e32 v40, 0x3e9e377a, v56
	;; [unrolled: 1-line block ×4, first 2 shown]
	ds_read2_b32 v[70:71], v78 offset0:74 offset1:129
	global_load_dwordx4 v[52:55], v[76:77], off offset:2112
	global_load_dwordx4 v[56:59], v[76:77], off offset:2128
	ds_read2_b32 v[76:77], v79 offset0:112 offset1:167
	s_waitcnt vmcnt(2)
	v_mul_f32_e32 v10, v31, v67
	v_mul_f32_e32 v37, v49, v65
	s_waitcnt lgkmcnt(1)
	v_fma_f32 v4, v71, v66, -v10
	v_mul_f32_e32 v10, v46, v69
	v_fma_f32 v37, v75, v64, -v37
	v_mul_f32_e32 v50, v29, v63
	v_mul_f32_e32 v75, v75, v65
	;; [unrolled: 1-line block ×3, first 2 shown]
	v_fma_f32 v10, v73, v68, -v10
	s_waitcnt lgkmcnt(0)
	v_fma_f32 v61, v77, v62, -v50
	v_mul_f32_e32 v67, v71, v67
	v_fmac_f32_e32 v65, v46, v68
	v_mul_f32_e32 v46, v77, v63
	v_fmac_f32_e32 v67, v31, v66
	v_fmac_f32_e32 v75, v49, v64
	;; [unrolled: 1-line block ×3, first 2 shown]
	v_sub_f32_e32 v68, v10, v4
	v_sub_f32_e32 v69, v61, v37
	v_fmac_f32_e32 v41, 0x3e9e377a, v32
	v_fmac_f32_e32 v39, 0x3e9e377a, v32
	v_sub_f32_e32 v32, v4, v10
	v_sub_f32_e32 v50, v37, v61
	;; [unrolled: 1-line block ×4, first 2 shown]
	v_add_f32_e32 v73, v68, v69
	v_add_f32_e32 v68, v4, v37
	;; [unrolled: 1-line block ×6, first 2 shown]
	v_fma_f32 v69, -0.5, v68, v60
	v_sub_f32_e32 v68, v65, v67
	v_sub_f32_e32 v71, v46, v75
	v_fma_f32 v32, -0.5, v32, v60
	v_fma_f32 v31, -0.5, v31, v36
	v_sub_f32_e32 v63, v4, v37
	v_add_f32_e32 v77, v68, v71
	v_add_f32_e32 v68, v67, v75
	v_add_f32_e32 v4, v4, v60
	v_sub_f32_e32 v64, v67, v75
	v_mov_b32_e32 v50, v32
	v_sub_f32_e32 v29, v65, v46
	v_mov_b32_e32 v49, v31
	v_mov_b32_e32 v72, v69
	v_fma_f32 v68, -0.5, v68, v36
	v_add_f32_e32 v4, v10, v4
	v_fmac_f32_e32 v50, 0xbf737871, v64
	v_fmac_f32_e32 v49, 0x3f737871, v63
	v_sub_f32_e32 v66, v10, v61
	v_fmac_f32_e32 v72, 0x3f737871, v29
	v_mov_b32_e32 v71, v68
	v_fmac_f32_e32 v69, 0xbf737871, v29
	v_fmac_f32_e32 v32, 0x3f737871, v64
	;; [unrolled: 1-line block ×3, first 2 shown]
	v_add_f32_e32 v4, v61, v4
	v_fmac_f32_e32 v50, 0xbf167918, v29
	v_fmac_f32_e32 v49, 0x3f167918, v66
	;; [unrolled: 1-line block ×8, first 2 shown]
	v_add_f32_e32 v37, v37, v4
	v_add_f32_e32 v4, v36, v67
	v_fmac_f32_e32 v50, 0x3e9e377a, v74
	v_fmac_f32_e32 v49, 0x3e9e377a, v62
	;; [unrolled: 1-line block ×8, first 2 shown]
	v_add_f32_e32 v4, v4, v65
	ds_read2_b32 v[73:74], v34 offset0:76 offset1:131
	global_load_dwordx4 v[60:63], v[6:7], off offset:2128
	global_load_dwordx4 v[64:67], v[6:7], off offset:2112
	v_fmac_f32_e32 v71, 0x3e9e377a, v77
	v_fmac_f32_e32 v68, 0x3e9e377a, v77
	ds_read2_b32 v[6:7], v14 offset0:38 offset1:93
	ds_read2_b32 v[77:78], v1 offset1:55
	s_waitcnt vmcnt(2)
	v_mul_f32_e32 v10, v28, v57
	v_fma_f32 v34, v76, v56, -v10
	v_mul_f32_e32 v10, v30, v53
	v_add_f32_e32 v4, v4, v46
	v_mul_f32_e32 v1, v13, v55
	v_fma_f32 v46, v70, v52, -v10
	s_waitcnt lgkmcnt(1)
	v_fma_f32 v1, v7, v54, -v1
	s_waitcnt lgkmcnt(0)
	v_add_f32_e32 v10, v78, v46
	v_add_f32_e32 v36, v75, v4
	v_mul_f32_e32 v4, v17, v59
	v_add_f32_e32 v10, v1, v10
	v_mul_f32_e32 v70, v70, v53
	v_fma_f32 v4, v74, v58, -v4
	v_add_f32_e32 v10, v34, v10
	v_fmac_f32_e32 v70, v30, v52
	v_mul_f32_e32 v7, v7, v55
	v_add_f32_e32 v14, v4, v10
	v_add_f32_e32 v10, v9, v70
	v_fmac_f32_e32 v7, v13, v54
	v_mul_f32_e32 v30, v76, v57
	v_add_f32_e32 v10, v7, v10
	v_fmac_f32_e32 v30, v28, v56
	v_mul_f32_e32 v54, v74, v59
	v_add_f32_e32 v10, v30, v10
	v_fmac_f32_e32 v54, v17, v58
	v_add_f32_e32 v28, v4, v46
	v_add_f32_e32 v13, v54, v10
	v_sub_f32_e32 v10, v1, v46
	v_sub_f32_e32 v17, v34, v4
	v_fma_f32 v29, -0.5, v28, v78
	v_add_f32_e32 v10, v17, v10
	v_sub_f32_e32 v17, v7, v30
	v_mov_b32_e32 v53, v29
	v_fmac_f32_e32 v53, 0x3f737871, v17
	v_sub_f32_e32 v28, v70, v54
	v_fmac_f32_e32 v29, 0xbf737871, v17
	v_fmac_f32_e32 v53, 0xbf167918, v28
	;; [unrolled: 1-line block ×5, first 2 shown]
	v_sub_f32_e32 v10, v46, v1
	v_sub_f32_e32 v52, v4, v34
	v_add_f32_e32 v52, v52, v10
	v_add_f32_e32 v10, v34, v1
	v_fma_f32 v10, -0.5, v10, v78
	v_mov_b32_e32 v55, v10
	v_fmac_f32_e32 v55, 0xbf737871, v28
	v_fmac_f32_e32 v10, 0x3f737871, v28
	;; [unrolled: 1-line block ×4, first 2 shown]
	v_sub_f32_e32 v17, v7, v70
	v_sub_f32_e32 v28, v30, v54
	v_add_f32_e32 v17, v28, v17
	v_add_f32_e32 v28, v54, v70
	v_fma_f32 v28, -0.5, v28, v9
	v_fmac_f32_e32 v55, 0x3e9e377a, v52
	v_fmac_f32_e32 v10, 0x3e9e377a, v52
	v_sub_f32_e32 v1, v1, v34
	v_mov_b32_e32 v52, v28
	v_sub_f32_e32 v4, v46, v4
	v_fmac_f32_e32 v52, 0xbf737871, v1
	v_fmac_f32_e32 v28, 0x3f737871, v1
	;; [unrolled: 1-line block ×6, first 2 shown]
	v_sub_f32_e32 v17, v70, v7
	v_add_f32_e32 v7, v30, v7
	v_fma_f32 v9, -0.5, v7, v9
	v_sub_f32_e32 v34, v54, v30
	v_mov_b32_e32 v54, v9
	v_fmac_f32_e32 v54, 0x3f737871, v4
	v_fmac_f32_e32 v9, 0xbf737871, v4
	;; [unrolled: 1-line block ×4, first 2 shown]
	s_waitcnt vmcnt(0)
	v_mul_f32_e32 v1, v15, v65
	v_add_f32_e32 v17, v34, v17
	v_fma_f32 v1, v35, v64, -v1
	v_mul_f32_e32 v35, v35, v65
	v_mul_f32_e32 v56, v73, v63
	;; [unrolled: 1-line block ×4, first 2 shown]
	v_fmac_f32_e32 v54, 0x3e9e377a, v17
	v_fmac_f32_e32 v9, 0x3e9e377a, v17
	v_mul_f32_e32 v4, v12, v67
	v_mul_f32_e32 v17, v16, v63
	;; [unrolled: 1-line block ×3, first 2 shown]
	v_fmac_f32_e32 v35, v15, v64
	v_fmac_f32_e32 v56, v16, v62
	;; [unrolled: 1-line block ×4, first 2 shown]
	v_fma_f32 v4, v6, v66, -v4
	v_fma_f32 v17, v73, v62, -v17
	;; [unrolled: 1-line block ×3, first 2 shown]
	v_sub_f32_e32 v6, v35, v58
	v_sub_f32_e32 v11, v56, v59
	v_add_f32_e32 v61, v6, v11
	v_sub_f32_e32 v11, v4, v1
	v_sub_f32_e32 v12, v30, v17
	;; [unrolled: 1-line block ×4, first 2 shown]
	v_add_f32_e32 v64, v11, v12
	v_add_f32_e32 v11, v1, v17
	;; [unrolled: 1-line block ×4, first 2 shown]
	v_sub_f32_e32 v62, v1, v17
	v_fma_f32 v12, -0.5, v11, v77
	v_add_f32_e32 v1, v1, v77
	v_fma_f32 v7, -0.5, v7, v77
	v_sub_f32_e32 v60, v58, v59
	v_mov_b32_e32 v34, v12
	v_add_f32_e32 v1, v4, v1
	v_sub_f32_e32 v57, v35, v56
	v_mov_b32_e32 v16, v7
	v_fmac_f32_e32 v34, 0x3f737871, v60
	v_fmac_f32_e32 v12, 0xbf737871, v60
	v_add_f32_e32 v1, v30, v1
	v_fmac_f32_e32 v16, 0xbf737871, v57
	v_fmac_f32_e32 v34, 0xbf167918, v57
	;; [unrolled: 1-line block ×4, first 2 shown]
	v_add_f32_e32 v57, v17, v1
	v_add_f32_e32 v1, v8, v35
	;; [unrolled: 1-line block ×3, first 2 shown]
	v_sub_f32_e32 v11, v58, v35
	v_sub_f32_e32 v33, v59, v56
	v_add_f32_e32 v1, v1, v59
	v_add_f32_e32 v65, v11, v33
	;; [unrolled: 1-line block ×4, first 2 shown]
	v_mov_b32_e32 v1, v5
	v_sub_f32_e32 v63, v4, v30
	v_mov_b32_e32 v4, s3
	v_add_co_u32_e32 v2, vcc, s2, v2
	v_lshlrev_b64 v[0:1], 3, v[0:1]
	v_add_f32_e32 v6, v58, v59
	v_addc_co_u32_e32 v3, vcc, v4, v3, vcc
	v_fma_f32 v6, -0.5, v6, v8
	v_add_co_u32_e32 v0, vcc, v2, v0
	v_mov_b32_e32 v15, v6
	v_fmac_f32_e32 v6, 0xbf737871, v62
	v_addc_co_u32_e32 v1, vcc, v3, v1, vcc
	v_fmac_f32_e32 v6, 0xbf167918, v63
	v_add_co_u32_e32 v2, vcc, s0, v0
	v_fmac_f32_e32 v7, 0x3f167918, v60
	v_fmac_f32_e32 v6, 0x3e9e377a, v61
	v_addc_co_u32_e32 v3, vcc, 0, v1, vcc
	s_movk_i32 s0, 0x2000
	v_fmac_f32_e32 v7, 0x3e9e377a, v46
	global_store_dwordx2 v[0:1], v[56:57], off
	global_store_dwordx2 v[0:1], v[6:7], off offset:2200
	v_add_co_u32_e32 v6, vcc, s0, v0
	s_mov_b32 s0, 0xdca01dcb
	v_fma_f32 v11, -0.5, v11, v8
	v_mul_hi_u32 v4, v51, s0
	v_fmac_f32_e32 v15, 0x3f737871, v62
	v_mov_b32_e32 v33, v11
	v_fmac_f32_e32 v11, 0x3f737871, v63
	v_fmac_f32_e32 v16, 0xbf167918, v60
	;; [unrolled: 1-line block ×10, first 2 shown]
	v_addc_co_u32_e32 v7, vcc, 0, v1, vcc
	v_fmac_f32_e32 v34, 0x3e9e377a, v64
	v_fmac_f32_e32 v33, 0x3e9e377a, v65
	global_store_dwordx2 v[2:3], v[11:12], off offset:304
	global_store_dwordx2 v[2:3], v[33:34], off offset:2504
	;; [unrolled: 1-line block ×18, first 2 shown]
	v_sub_u32_e32 v2, v51, v4
	v_lshrrev_b32_e32 v2, 1, v2
	v_add_u32_e32 v2, v2, v4
	v_lshrrev_b32_e32 v2, 8, v2
	v_mul_u32_u24_e32 v4, 0x44c, v2
	v_lshlrev_b64 v[2:3], 3, v[4:5]
	v_add_co_u32_e32 v0, vcc, v0, v2
	v_addc_co_u32_e32 v1, vcc, v1, v3, vcc
	v_add_co_u32_e32 v2, vcc, 0x1000, v0
	v_addc_co_u32_e32 v3, vcc, 0, v1, vcc
	global_store_dwordx2 v[0:1], v[26:27], off offset:1760
	global_store_dwordx2 v[0:1], v[24:25], off offset:3960
	v_add_co_u32_e32 v0, vcc, 0x2000, v0
	v_addc_co_u32_e32 v1, vcc, 0, v1, vcc
	global_store_dwordx2 v[2:3], v[22:23], off offset:2064
	global_store_dwordx2 v[0:1], v[20:21], off offset:168
	;; [unrolled: 1-line block ×3, first 2 shown]
.LBB0_19:
	s_endpgm
	.section	.rodata,"a",@progbits
	.p2align	6, 0x0
	.amdhsa_kernel fft_rtc_back_len1375_factors_11_5_5_5_wgs_55_tpt_55_halfLds_sp_ip_CI_unitstride_sbrr_dirReg
		.amdhsa_group_segment_fixed_size 0
		.amdhsa_private_segment_fixed_size 0
		.amdhsa_kernarg_size 88
		.amdhsa_user_sgpr_count 6
		.amdhsa_user_sgpr_private_segment_buffer 1
		.amdhsa_user_sgpr_dispatch_ptr 0
		.amdhsa_user_sgpr_queue_ptr 0
		.amdhsa_user_sgpr_kernarg_segment_ptr 1
		.amdhsa_user_sgpr_dispatch_id 0
		.amdhsa_user_sgpr_flat_scratch_init 0
		.amdhsa_user_sgpr_private_segment_size 0
		.amdhsa_uses_dynamic_stack 0
		.amdhsa_system_sgpr_private_segment_wavefront_offset 0
		.amdhsa_system_sgpr_workgroup_id_x 1
		.amdhsa_system_sgpr_workgroup_id_y 0
		.amdhsa_system_sgpr_workgroup_id_z 0
		.amdhsa_system_sgpr_workgroup_info 0
		.amdhsa_system_vgpr_workitem_id 0
		.amdhsa_next_free_vgpr 120
		.amdhsa_next_free_sgpr 22
		.amdhsa_reserve_vcc 1
		.amdhsa_reserve_flat_scratch 0
		.amdhsa_float_round_mode_32 0
		.amdhsa_float_round_mode_16_64 0
		.amdhsa_float_denorm_mode_32 3
		.amdhsa_float_denorm_mode_16_64 3
		.amdhsa_dx10_clamp 1
		.amdhsa_ieee_mode 1
		.amdhsa_fp16_overflow 0
		.amdhsa_exception_fp_ieee_invalid_op 0
		.amdhsa_exception_fp_denorm_src 0
		.amdhsa_exception_fp_ieee_div_zero 0
		.amdhsa_exception_fp_ieee_overflow 0
		.amdhsa_exception_fp_ieee_underflow 0
		.amdhsa_exception_fp_ieee_inexact 0
		.amdhsa_exception_int_div_zero 0
	.end_amdhsa_kernel
	.text
.Lfunc_end0:
	.size	fft_rtc_back_len1375_factors_11_5_5_5_wgs_55_tpt_55_halfLds_sp_ip_CI_unitstride_sbrr_dirReg, .Lfunc_end0-fft_rtc_back_len1375_factors_11_5_5_5_wgs_55_tpt_55_halfLds_sp_ip_CI_unitstride_sbrr_dirReg
                                        ; -- End function
	.section	.AMDGPU.csdata,"",@progbits
; Kernel info:
; codeLenInByte = 16712
; NumSgprs: 26
; NumVgprs: 120
; ScratchSize: 0
; MemoryBound: 0
; FloatMode: 240
; IeeeMode: 1
; LDSByteSize: 0 bytes/workgroup (compile time only)
; SGPRBlocks: 3
; VGPRBlocks: 29
; NumSGPRsForWavesPerEU: 26
; NumVGPRsForWavesPerEU: 120
; Occupancy: 2
; WaveLimiterHint : 1
; COMPUTE_PGM_RSRC2:SCRATCH_EN: 0
; COMPUTE_PGM_RSRC2:USER_SGPR: 6
; COMPUTE_PGM_RSRC2:TRAP_HANDLER: 0
; COMPUTE_PGM_RSRC2:TGID_X_EN: 1
; COMPUTE_PGM_RSRC2:TGID_Y_EN: 0
; COMPUTE_PGM_RSRC2:TGID_Z_EN: 0
; COMPUTE_PGM_RSRC2:TIDIG_COMP_CNT: 0
	.type	__hip_cuid_e113184a34ecb25,@object ; @__hip_cuid_e113184a34ecb25
	.section	.bss,"aw",@nobits
	.globl	__hip_cuid_e113184a34ecb25
__hip_cuid_e113184a34ecb25:
	.byte	0                               ; 0x0
	.size	__hip_cuid_e113184a34ecb25, 1

	.ident	"AMD clang version 19.0.0git (https://github.com/RadeonOpenCompute/llvm-project roc-6.4.0 25133 c7fe45cf4b819c5991fe208aaa96edf142730f1d)"
	.section	".note.GNU-stack","",@progbits
	.addrsig
	.addrsig_sym __hip_cuid_e113184a34ecb25
	.amdgpu_metadata
---
amdhsa.kernels:
  - .args:
      - .actual_access:  read_only
        .address_space:  global
        .offset:         0
        .size:           8
        .value_kind:     global_buffer
      - .offset:         8
        .size:           8
        .value_kind:     by_value
      - .actual_access:  read_only
        .address_space:  global
        .offset:         16
        .size:           8
        .value_kind:     global_buffer
      - .actual_access:  read_only
        .address_space:  global
        .offset:         24
        .size:           8
        .value_kind:     global_buffer
      - .offset:         32
        .size:           8
        .value_kind:     by_value
      - .actual_access:  read_only
        .address_space:  global
        .offset:         40
        .size:           8
        .value_kind:     global_buffer
      - .actual_access:  read_only
        .address_space:  global
        .offset:         48
        .size:           8
        .value_kind:     global_buffer
      - .offset:         56
        .size:           4
        .value_kind:     by_value
      - .actual_access:  read_only
        .address_space:  global
        .offset:         64
        .size:           8
        .value_kind:     global_buffer
      - .actual_access:  read_only
        .address_space:  global
        .offset:         72
        .size:           8
        .value_kind:     global_buffer
      - .address_space:  global
        .offset:         80
        .size:           8
        .value_kind:     global_buffer
    .group_segment_fixed_size: 0
    .kernarg_segment_align: 8
    .kernarg_segment_size: 88
    .language:       OpenCL C
    .language_version:
      - 2
      - 0
    .max_flat_workgroup_size: 55
    .name:           fft_rtc_back_len1375_factors_11_5_5_5_wgs_55_tpt_55_halfLds_sp_ip_CI_unitstride_sbrr_dirReg
    .private_segment_fixed_size: 0
    .sgpr_count:     26
    .sgpr_spill_count: 0
    .symbol:         fft_rtc_back_len1375_factors_11_5_5_5_wgs_55_tpt_55_halfLds_sp_ip_CI_unitstride_sbrr_dirReg.kd
    .uniform_work_group_size: 1
    .uses_dynamic_stack: false
    .vgpr_count:     120
    .vgpr_spill_count: 0
    .wavefront_size: 64
amdhsa.target:   amdgcn-amd-amdhsa--gfx906
amdhsa.version:
  - 1
  - 2
...

	.end_amdgpu_metadata
